;; amdgpu-corpus repo=ROCm/rocFFT kind=compiled arch=gfx1201 opt=O3
	.text
	.amdgcn_target "amdgcn-amd-amdhsa--gfx1201"
	.amdhsa_code_object_version 6
	.protected	fft_rtc_back_len975_factors_13_5_3_5_wgs_117_tpt_39_halfLds_dp_op_CI_CI_sbrr_dirReg ; -- Begin function fft_rtc_back_len975_factors_13_5_3_5_wgs_117_tpt_39_halfLds_dp_op_CI_CI_sbrr_dirReg
	.globl	fft_rtc_back_len975_factors_13_5_3_5_wgs_117_tpt_39_halfLds_dp_op_CI_CI_sbrr_dirReg
	.p2align	8
	.type	fft_rtc_back_len975_factors_13_5_3_5_wgs_117_tpt_39_halfLds_dp_op_CI_CI_sbrr_dirReg,@function
fft_rtc_back_len975_factors_13_5_3_5_wgs_117_tpt_39_halfLds_dp_op_CI_CI_sbrr_dirReg: ; @fft_rtc_back_len975_factors_13_5_3_5_wgs_117_tpt_39_halfLds_dp_op_CI_CI_sbrr_dirReg
; %bb.0:
	s_clause 0x1
	s_load_b128 s[12:15], s[0:1], 0x18
	s_load_b128 s[8:11], s[0:1], 0x0
	v_mul_u32_u24_e32 v1, 0x691, v0
	v_mov_b32_e32 v4, 0
	s_load_b128 s[4:7], s[0:1], 0x58
	s_wait_kmcnt 0x0
	s_load_b64 s[18:19], s[12:13], 0x0
	s_load_b64 s[16:17], s[14:15], 0x0
	v_lshrrev_b32_e32 v2, 16, v1
	v_mov_b32_e32 v1, 0
	v_cmp_lt_u64_e64 s2, s[10:11], 2
	s_delay_alu instid0(VALU_DEP_3) | instskip(NEXT) | instid1(VALU_DEP_3)
	v_mad_co_u64_u32 v[106:107], null, ttmp9, 3, v[2:3]
	v_mov_b32_e32 v107, v1
	v_mov_b32_e32 v5, 0
	s_delay_alu instid0(VALU_DEP_4) | instskip(NEXT) | instid1(VALU_DEP_2)
	s_and_b32 vcc_lo, exec_lo, s2
	v_dual_mov_b32 v137, v107 :: v_dual_mov_b32 v136, v106
	s_delay_alu instid0(VALU_DEP_2)
	v_dual_mov_b32 v141, v5 :: v_dual_mov_b32 v140, v4
	s_cbranch_vccnz .LBB0_8
; %bb.1:
	s_load_b64 s[2:3], s[0:1], 0x10
	v_mov_b32_e32 v4, 0
	v_dual_mov_b32 v5, 0 :: v_dual_mov_b32 v6, v106
	v_mov_b32_e32 v7, v107
	s_add_nc_u64 s[20:21], s[14:15], 8
	s_add_nc_u64 s[22:23], s[12:13], 8
	s_delay_alu instid0(VALU_DEP_2)
	v_dual_mov_b32 v141, v5 :: v_dual_mov_b32 v140, v4
	s_mov_b64 s[24:25], 1
	s_wait_kmcnt 0x0
	s_add_nc_u64 s[26:27], s[2:3], 8
	s_mov_b32 s3, 0
.LBB0_2:                                ; =>This Inner Loop Header: Depth=1
	s_load_b64 s[28:29], s[26:27], 0x0
                                        ; implicit-def: $vgpr136_vgpr137
	s_mov_b32 s2, exec_lo
	s_wait_kmcnt 0x0
	v_or_b32_e32 v2, s29, v7
	s_delay_alu instid0(VALU_DEP_1)
	v_cmpx_ne_u64_e32 0, v[1:2]
	s_wait_alu 0xfffe
	s_xor_b32 s30, exec_lo, s2
	s_cbranch_execz .LBB0_4
; %bb.3:                                ;   in Loop: Header=BB0_2 Depth=1
	s_cvt_f32_u32 s2, s28
	s_cvt_f32_u32 s31, s29
	s_sub_nc_u64 s[36:37], 0, s[28:29]
	s_wait_alu 0xfffe
	s_delay_alu instid0(SALU_CYCLE_1) | instskip(SKIP_1) | instid1(SALU_CYCLE_2)
	s_fmamk_f32 s2, s31, 0x4f800000, s2
	s_wait_alu 0xfffe
	v_s_rcp_f32 s2, s2
	s_delay_alu instid0(TRANS32_DEP_1) | instskip(SKIP_1) | instid1(SALU_CYCLE_2)
	s_mul_f32 s2, s2, 0x5f7ffffc
	s_wait_alu 0xfffe
	s_mul_f32 s31, s2, 0x2f800000
	s_wait_alu 0xfffe
	s_delay_alu instid0(SALU_CYCLE_2) | instskip(SKIP_1) | instid1(SALU_CYCLE_2)
	s_trunc_f32 s31, s31
	s_wait_alu 0xfffe
	s_fmamk_f32 s2, s31, 0xcf800000, s2
	s_cvt_u32_f32 s35, s31
	s_wait_alu 0xfffe
	s_delay_alu instid0(SALU_CYCLE_1) | instskip(SKIP_1) | instid1(SALU_CYCLE_2)
	s_cvt_u32_f32 s34, s2
	s_wait_alu 0xfffe
	s_mul_u64 s[38:39], s[36:37], s[34:35]
	s_wait_alu 0xfffe
	s_mul_hi_u32 s41, s34, s39
	s_mul_i32 s40, s34, s39
	s_mul_hi_u32 s2, s34, s38
	s_mul_i32 s33, s35, s38
	s_wait_alu 0xfffe
	s_add_nc_u64 s[40:41], s[2:3], s[40:41]
	s_mul_hi_u32 s31, s35, s38
	s_mul_hi_u32 s42, s35, s39
	s_add_co_u32 s2, s40, s33
	s_wait_alu 0xfffe
	s_add_co_ci_u32 s2, s41, s31
	s_mul_i32 s38, s35, s39
	s_add_co_ci_u32 s39, s42, 0
	s_wait_alu 0xfffe
	s_add_nc_u64 s[38:39], s[2:3], s[38:39]
	s_wait_alu 0xfffe
	v_add_co_u32 v2, s2, s34, s38
	s_delay_alu instid0(VALU_DEP_1) | instskip(SKIP_1) | instid1(VALU_DEP_1)
	s_cmp_lg_u32 s2, 0
	s_add_co_ci_u32 s35, s35, s39
	v_readfirstlane_b32 s34, v2
	s_wait_alu 0xfffe
	s_delay_alu instid0(VALU_DEP_1)
	s_mul_u64 s[36:37], s[36:37], s[34:35]
	s_wait_alu 0xfffe
	s_mul_hi_u32 s39, s34, s37
	s_mul_i32 s38, s34, s37
	s_mul_hi_u32 s2, s34, s36
	s_mul_i32 s33, s35, s36
	s_wait_alu 0xfffe
	s_add_nc_u64 s[38:39], s[2:3], s[38:39]
	s_mul_hi_u32 s31, s35, s36
	s_mul_hi_u32 s34, s35, s37
	s_wait_alu 0xfffe
	s_add_co_u32 s2, s38, s33
	s_add_co_ci_u32 s2, s39, s31
	s_mul_i32 s36, s35, s37
	s_add_co_ci_u32 s37, s34, 0
	s_wait_alu 0xfffe
	s_add_nc_u64 s[36:37], s[2:3], s[36:37]
	s_wait_alu 0xfffe
	v_add_co_u32 v8, s2, v2, s36
	s_delay_alu instid0(VALU_DEP_1) | instskip(SKIP_1) | instid1(VALU_DEP_1)
	s_cmp_lg_u32 s2, 0
	s_add_co_ci_u32 s2, s35, s37
	v_mul_hi_u32 v12, v6, v8
	s_wait_alu 0xfffe
	v_mad_co_u64_u32 v[2:3], null, v6, s2, 0
	v_mad_co_u64_u32 v[8:9], null, v7, v8, 0
	;; [unrolled: 1-line block ×3, first 2 shown]
	s_delay_alu instid0(VALU_DEP_3) | instskip(SKIP_1) | instid1(VALU_DEP_4)
	v_add_co_u32 v2, vcc_lo, v12, v2
	s_wait_alu 0xfffd
	v_add_co_ci_u32_e32 v3, vcc_lo, 0, v3, vcc_lo
	s_delay_alu instid0(VALU_DEP_2) | instskip(SKIP_1) | instid1(VALU_DEP_2)
	v_add_co_u32 v2, vcc_lo, v2, v8
	s_wait_alu 0xfffd
	v_add_co_ci_u32_e32 v2, vcc_lo, v3, v9, vcc_lo
	s_wait_alu 0xfffd
	v_add_co_ci_u32_e32 v3, vcc_lo, 0, v11, vcc_lo
	s_delay_alu instid0(VALU_DEP_2) | instskip(SKIP_1) | instid1(VALU_DEP_2)
	v_add_co_u32 v8, vcc_lo, v2, v10
	s_wait_alu 0xfffd
	v_add_co_ci_u32_e32 v9, vcc_lo, 0, v3, vcc_lo
	s_delay_alu instid0(VALU_DEP_2) | instskip(SKIP_1) | instid1(VALU_DEP_3)
	v_mul_lo_u32 v10, s29, v8
	v_mad_co_u64_u32 v[2:3], null, s28, v8, 0
	v_mul_lo_u32 v11, s28, v9
	s_delay_alu instid0(VALU_DEP_2) | instskip(NEXT) | instid1(VALU_DEP_2)
	v_sub_co_u32 v2, vcc_lo, v6, v2
	v_add3_u32 v3, v3, v11, v10
	s_delay_alu instid0(VALU_DEP_1) | instskip(SKIP_1) | instid1(VALU_DEP_1)
	v_sub_nc_u32_e32 v10, v7, v3
	s_wait_alu 0xfffd
	v_subrev_co_ci_u32_e64 v10, s2, s29, v10, vcc_lo
	v_add_co_u32 v11, s2, v8, 2
	s_wait_alu 0xf1ff
	v_add_co_ci_u32_e64 v12, s2, 0, v9, s2
	v_sub_co_u32 v13, s2, v2, s28
	v_sub_co_ci_u32_e32 v3, vcc_lo, v7, v3, vcc_lo
	s_wait_alu 0xf1ff
	v_subrev_co_ci_u32_e64 v10, s2, 0, v10, s2
	s_delay_alu instid0(VALU_DEP_3) | instskip(NEXT) | instid1(VALU_DEP_3)
	v_cmp_le_u32_e32 vcc_lo, s28, v13
	v_cmp_eq_u32_e64 s2, s29, v3
	s_wait_alu 0xfffd
	v_cndmask_b32_e64 v13, 0, -1, vcc_lo
	v_cmp_le_u32_e32 vcc_lo, s29, v10
	s_wait_alu 0xfffd
	v_cndmask_b32_e64 v14, 0, -1, vcc_lo
	v_cmp_le_u32_e32 vcc_lo, s28, v2
	;; [unrolled: 3-line block ×3, first 2 shown]
	s_wait_alu 0xfffd
	v_cndmask_b32_e64 v15, 0, -1, vcc_lo
	v_cmp_eq_u32_e32 vcc_lo, s29, v10
	s_wait_alu 0xf1ff
	s_delay_alu instid0(VALU_DEP_2)
	v_cndmask_b32_e64 v2, v15, v2, s2
	s_wait_alu 0xfffd
	v_cndmask_b32_e32 v10, v14, v13, vcc_lo
	v_add_co_u32 v13, vcc_lo, v8, 1
	s_wait_alu 0xfffd
	v_add_co_ci_u32_e32 v14, vcc_lo, 0, v9, vcc_lo
	s_delay_alu instid0(VALU_DEP_3) | instskip(SKIP_1) | instid1(VALU_DEP_2)
	v_cmp_ne_u32_e32 vcc_lo, 0, v10
	s_wait_alu 0xfffd
	v_dual_cndmask_b32 v3, v14, v12 :: v_dual_cndmask_b32 v10, v13, v11
	v_cmp_ne_u32_e32 vcc_lo, 0, v2
	s_wait_alu 0xfffd
	s_delay_alu instid0(VALU_DEP_2)
	v_dual_cndmask_b32 v137, v9, v3 :: v_dual_cndmask_b32 v136, v8, v10
.LBB0_4:                                ;   in Loop: Header=BB0_2 Depth=1
	s_wait_alu 0xfffe
	s_and_not1_saveexec_b32 s2, s30
	s_cbranch_execz .LBB0_6
; %bb.5:                                ;   in Loop: Header=BB0_2 Depth=1
	v_cvt_f32_u32_e32 v2, s28
	s_sub_co_i32 s30, 0, s28
	v_mov_b32_e32 v137, v1
	s_delay_alu instid0(VALU_DEP_2) | instskip(NEXT) | instid1(TRANS32_DEP_1)
	v_rcp_iflag_f32_e32 v2, v2
	v_mul_f32_e32 v2, 0x4f7ffffe, v2
	s_delay_alu instid0(VALU_DEP_1) | instskip(SKIP_1) | instid1(VALU_DEP_1)
	v_cvt_u32_f32_e32 v2, v2
	s_wait_alu 0xfffe
	v_mul_lo_u32 v3, s30, v2
	s_delay_alu instid0(VALU_DEP_1) | instskip(NEXT) | instid1(VALU_DEP_1)
	v_mul_hi_u32 v3, v2, v3
	v_add_nc_u32_e32 v2, v2, v3
	s_delay_alu instid0(VALU_DEP_1) | instskip(NEXT) | instid1(VALU_DEP_1)
	v_mul_hi_u32 v2, v6, v2
	v_mul_lo_u32 v3, v2, s28
	v_add_nc_u32_e32 v8, 1, v2
	s_delay_alu instid0(VALU_DEP_2) | instskip(NEXT) | instid1(VALU_DEP_1)
	v_sub_nc_u32_e32 v3, v6, v3
	v_subrev_nc_u32_e32 v9, s28, v3
	v_cmp_le_u32_e32 vcc_lo, s28, v3
	s_wait_alu 0xfffd
	s_delay_alu instid0(VALU_DEP_2) | instskip(NEXT) | instid1(VALU_DEP_1)
	v_dual_cndmask_b32 v3, v3, v9 :: v_dual_cndmask_b32 v2, v2, v8
	v_cmp_le_u32_e32 vcc_lo, s28, v3
	s_delay_alu instid0(VALU_DEP_2) | instskip(SKIP_1) | instid1(VALU_DEP_1)
	v_add_nc_u32_e32 v8, 1, v2
	s_wait_alu 0xfffd
	v_cndmask_b32_e32 v136, v2, v8, vcc_lo
.LBB0_6:                                ;   in Loop: Header=BB0_2 Depth=1
	s_wait_alu 0xfffe
	s_or_b32 exec_lo, exec_lo, s2
	v_mul_lo_u32 v8, v137, s28
	s_delay_alu instid0(VALU_DEP_2)
	v_mul_lo_u32 v9, v136, s29
	s_load_b64 s[30:31], s[22:23], 0x0
	v_mad_co_u64_u32 v[2:3], null, v136, s28, 0
	s_load_b64 s[28:29], s[20:21], 0x0
	s_add_nc_u64 s[24:25], s[24:25], 1
	s_add_nc_u64 s[20:21], s[20:21], 8
	s_wait_alu 0xfffe
	v_cmp_ge_u64_e64 s2, s[24:25], s[10:11]
	s_add_nc_u64 s[22:23], s[22:23], 8
	s_add_nc_u64 s[26:27], s[26:27], 8
	v_add3_u32 v3, v3, v9, v8
	v_sub_co_u32 v2, vcc_lo, v6, v2
	s_wait_alu 0xfffd
	s_delay_alu instid0(VALU_DEP_2) | instskip(SKIP_2) | instid1(VALU_DEP_1)
	v_sub_co_ci_u32_e32 v3, vcc_lo, v7, v3, vcc_lo
	s_and_b32 vcc_lo, exec_lo, s2
	s_wait_kmcnt 0x0
	v_mul_lo_u32 v6, s30, v3
	v_mul_lo_u32 v7, s31, v2
	v_mad_co_u64_u32 v[4:5], null, s30, v2, v[4:5]
	v_mul_lo_u32 v3, s28, v3
	v_mul_lo_u32 v8, s29, v2
	v_mad_co_u64_u32 v[140:141], null, s28, v2, v[140:141]
	s_delay_alu instid0(VALU_DEP_4) | instskip(NEXT) | instid1(VALU_DEP_2)
	v_add3_u32 v5, v7, v5, v6
	v_add3_u32 v141, v8, v141, v3
	s_wait_alu 0xfffe
	s_cbranch_vccnz .LBB0_8
; %bb.7:                                ;   in Loop: Header=BB0_2 Depth=1
	v_dual_mov_b32 v6, v136 :: v_dual_mov_b32 v7, v137
	s_branch .LBB0_2
.LBB0_8:
	s_load_b64 s[0:1], s[0:1], 0x28
	v_mul_hi_u32 v1, 0x6906907, v0
	s_lshl_b64 s[10:11], s[10:11], 3
                                        ; implicit-def: $vgpr152
	s_wait_alu 0xfffe
	s_add_nc_u64 s[2:3], s[14:15], s[10:11]
	s_wait_kmcnt 0x0
	v_cmp_gt_u64_e32 vcc_lo, s[0:1], v[136:137]
	v_cmp_le_u64_e64 s0, s[0:1], v[136:137]
	s_delay_alu instid0(VALU_DEP_1)
	s_and_saveexec_b32 s1, s0
	s_wait_alu 0xfffe
	s_xor_b32 s0, exec_lo, s1
; %bb.9:
	v_mul_u32_u24_e32 v1, 39, v1
                                        ; implicit-def: $vgpr4_vgpr5
	s_delay_alu instid0(VALU_DEP_1)
	v_sub_nc_u32_e32 v152, v0, v1
                                        ; implicit-def: $vgpr1
                                        ; implicit-def: $vgpr0
; %bb.10:
	s_wait_alu 0xfffe
	s_or_saveexec_b32 s1, s0
	s_load_b64 s[2:3], s[2:3], 0x0
                                        ; implicit-def: $vgpr6_vgpr7
                                        ; implicit-def: $vgpr10_vgpr11
                                        ; implicit-def: $vgpr14_vgpr15
                                        ; implicit-def: $vgpr18_vgpr19
                                        ; implicit-def: $vgpr30_vgpr31
                                        ; implicit-def: $vgpr42_vgpr43
                                        ; implicit-def: $vgpr82_vgpr83
                                        ; implicit-def: $vgpr66_vgpr67
                                        ; implicit-def: $vgpr102_vgpr103
                                        ; implicit-def: $vgpr94_vgpr95
                                        ; implicit-def: $vgpr90_vgpr91
                                        ; implicit-def: $vgpr50_vgpr51
                                        ; implicit-def: $vgpr2_vgpr3
                                        ; implicit-def: $vgpr26_vgpr27
                                        ; implicit-def: $vgpr38_vgpr39
                                        ; implicit-def: $vgpr46_vgpr47
                                        ; implicit-def: $vgpr78_vgpr79
                                        ; implicit-def: $vgpr98_vgpr99
                                        ; implicit-def: $vgpr58_vgpr59
                                        ; implicit-def: $vgpr54_vgpr55
                                        ; implicit-def: $vgpr34_vgpr35
                                        ; implicit-def: $vgpr70_vgpr71
                                        ; implicit-def: $vgpr74_vgpr75
                                        ; implicit-def: $vgpr86_vgpr87
                                        ; implicit-def: $vgpr62_vgpr63
                                        ; implicit-def: $vgpr22_vgpr23
	s_xor_b32 exec_lo, exec_lo, s1
	s_cbranch_execz .LBB0_14
; %bb.11:
	s_add_nc_u64 s[10:11], s[12:13], s[10:11]
	v_mul_u32_u24_e32 v1, 39, v1
	s_load_b64 s[10:11], s[10:11], 0x0
	v_lshlrev_b64_e32 v[4:5], 4, v[4:5]
                                        ; implicit-def: $vgpr48_vgpr49
                                        ; implicit-def: $vgpr88_vgpr89
                                        ; implicit-def: $vgpr92_vgpr93
                                        ; implicit-def: $vgpr100_vgpr101
                                        ; implicit-def: $vgpr64_vgpr65
                                        ; implicit-def: $vgpr80_vgpr81
                                        ; implicit-def: $vgpr40_vgpr41
                                        ; implicit-def: $vgpr28_vgpr29
	s_delay_alu instid0(VALU_DEP_2) | instskip(NEXT) | instid1(VALU_DEP_1)
	v_sub_nc_u32_e32 v152, v0, v1
	v_add_nc_u32_e32 v14, 0x4b, v152
	v_mad_co_u64_u32 v[0:1], null, s18, v152, 0
	v_add_nc_u32_e32 v15, 0x96, v152
	v_add_nc_u32_e32 v19, 0x12c, v152
	s_delay_alu instid0(VALU_DEP_4) | instskip(NEXT) | instid1(VALU_DEP_3)
	v_mad_co_u64_u32 v[2:3], null, s18, v14, 0
	v_mad_co_u64_u32 v[8:9], null, s18, v15, 0
	s_wait_kmcnt 0x0
	v_mul_lo_u32 v17, s11, v136
	v_mul_lo_u32 v18, s10, v137
	v_mad_co_u64_u32 v[6:7], null, s10, v136, 0
	v_mad_co_u64_u32 v[12:13], null, s19, v152, v[1:2]
	s_delay_alu instid0(VALU_DEP_2) | instskip(SKIP_1) | instid1(VALU_DEP_3)
	v_add3_u32 v7, v7, v18, v17
	v_add_nc_u32_e32 v17, 0x20d, v152
	v_mov_b32_e32 v1, v12
	v_mad_co_u64_u32 v[12:13], null, s19, v14, v[3:4]
	v_add_nc_u32_e32 v16, 0xe1, v152
	v_lshlrev_b64_e32 v[6:7], 4, v[6:7]
	s_delay_alu instid0(VALU_DEP_4) | instskip(NEXT) | instid1(VALU_DEP_4)
	v_lshlrev_b64_e32 v[0:1], 4, v[0:1]
	v_mov_b32_e32 v3, v12
	s_delay_alu instid0(VALU_DEP_4) | instskip(NEXT) | instid1(VALU_DEP_4)
	v_mad_co_u64_u32 v[10:11], null, s18, v16, 0
	v_add_co_u32 v6, s0, s4, v6
	s_wait_alu 0xf1ff
	v_add_co_ci_u32_e64 v7, s0, s5, v7, s0
	v_lshlrev_b64_e32 v[2:3], 4, v[2:3]
	s_delay_alu instid0(VALU_DEP_3) | instskip(SKIP_3) | instid1(VALU_DEP_3)
	v_add_co_u32 v6, s0, v6, v4
	v_mad_co_u64_u32 v[13:14], null, s19, v15, v[9:10]
	s_wait_alu 0xf1ff
	v_add_co_ci_u32_e64 v7, s0, v7, v5, s0
	v_add_co_u32 v0, s0, v6, v0
	v_mad_co_u64_u32 v[4:5], null, s19, v16, v[11:12]
	s_wait_alu 0xf1ff
	s_delay_alu instid0(VALU_DEP_3)
	v_add_co_ci_u32_e64 v1, s0, v7, v1, s0
	v_add_co_u32 v2, s0, v6, v2
	v_mad_co_u64_u32 v[14:15], null, s18, v19, 0
	v_dual_mov_b32 v9, v13 :: v_dual_add_nc_u32 v16, 0x1c2, v152
	v_add_nc_u32_e32 v13, 0x177, v152
	s_wait_alu 0xf1ff
	v_add_co_ci_u32_e64 v3, s0, v7, v3, s0
	s_clause 0x1
	global_load_b128 v[20:23], v[0:1], off
	global_load_b128 v[60:63], v[2:3], off
	v_mov_b32_e32 v11, v4
	v_mad_co_u64_u32 v[3:4], null, s18, v13, 0
	v_lshlrev_b64_e32 v[0:1], 4, v[8:9]
	v_mov_b32_e32 v2, v15
	s_delay_alu instid0(VALU_DEP_4) | instskip(SKIP_1) | instid1(VALU_DEP_3)
	v_lshlrev_b64_e32 v[8:9], 4, v[10:11]
	s_mov_b32 s4, exec_lo
	v_add_co_u32 v0, s0, v6, v0
	s_delay_alu instid0(VALU_DEP_3)
	v_mad_co_u64_u32 v[10:11], null, s19, v19, v[2:3]
	v_mov_b32_e32 v2, v4
	s_wait_alu 0xf1ff
	v_add_co_ci_u32_e64 v1, s0, v7, v1, s0
	v_add_co_u32 v4, s0, v6, v8
	v_mad_co_u64_u32 v[11:12], null, s18, v16, 0
	s_wait_alu 0xf1ff
	v_add_co_ci_u32_e64 v5, s0, v7, v9, s0
	v_mad_co_u64_u32 v[8:9], null, s19, v13, v[2:3]
	v_mov_b32_e32 v15, v10
	v_mad_co_u64_u32 v[9:10], null, s18, v17, 0
	v_mov_b32_e32 v2, v12
	s_clause 0x1
	global_load_b128 v[84:87], v[0:1], off
	global_load_b128 v[72:75], v[4:5], off
	v_dual_mov_b32 v4, v8 :: v_dual_add_nc_u32 v19, 0x2ee, v152
	v_add_nc_u32_e32 v8, 0x258, v152
	v_mad_co_u64_u32 v[12:13], null, s19, v16, v[2:3]
	v_lshlrev_b64_e32 v[0:1], 4, v[14:15]
	s_delay_alu instid0(VALU_DEP_4) | instskip(SKIP_1) | instid1(VALU_DEP_3)
	v_lshlrev_b64_e32 v[3:4], 4, v[3:4]
	v_mov_b32_e32 v2, v10
	v_add_co_u32 v0, s0, v6, v0
	s_delay_alu instid0(VALU_DEP_2)
	v_mad_co_u64_u32 v[13:14], null, s19, v17, v[2:3]
	s_wait_alu 0xf1ff
	v_add_co_ci_u32_e64 v1, s0, v7, v1, s0
	v_add_co_u32 v2, s0, v6, v3
	s_wait_alu 0xf1ff
	v_add_co_ci_u32_e64 v3, s0, v7, v4, s0
	v_lshlrev_b64_e32 v[4:5], 4, v[11:12]
	v_mad_co_u64_u32 v[11:12], null, s18, v8, 0
	v_dual_mov_b32 v10, v13 :: v_dual_add_nc_u32 v17, 0x2a3, v152
	s_clause 0x1
	global_load_b128 v[68:71], v[0:1], off
	global_load_b128 v[32:35], v[2:3], off
	v_add_co_u32 v0, s0, v6, v4
	v_lshlrev_b64_e32 v[3:4], 4, v[9:10]
	v_mov_b32_e32 v2, v12
	v_mad_co_u64_u32 v[13:14], null, s18, v19, 0
	v_add_nc_u32_e32 v24, 0x339, v152
	s_wait_alu 0xf1ff
	v_add_co_ci_u32_e64 v1, s0, v7, v5, s0
	v_mad_co_u64_u32 v[8:9], null, s19, v8, v[2:3]
	v_mad_co_u64_u32 v[9:10], null, s18, v17, 0
	v_mov_b32_e32 v5, v14
	v_add_co_u32 v2, s0, v6, v3
	s_wait_alu 0xf1ff
	v_add_co_ci_u32_e64 v3, s0, v7, v4, s0
	v_mov_b32_e32 v12, v8
	v_mov_b32_e32 v4, v10
	v_mad_co_u64_u32 v[15:16], null, s18, v24, 0
	v_add_nc_u32_e32 v8, 0x384, v152
	s_clause 0x1
	global_load_b128 v[52:55], v[0:1], off
	global_load_b128 v[56:59], v[2:3], off
	v_mad_co_u64_u32 v[17:18], null, s19, v17, v[4:5]
	v_mad_co_u64_u32 v[4:5], null, s19, v19, v[5:6]
	v_mad_co_u64_u32 v[18:19], null, s18, v8, 0
	v_lshlrev_b64_e32 v[1:2], 4, v[11:12]
	v_mov_b32_e32 v0, v16
	v_mov_b32_e32 v10, v17
	;; [unrolled: 1-line block ×3, first 2 shown]
	s_delay_alu instid0(VALU_DEP_3)
	v_mad_co_u64_u32 v[3:4], null, s19, v24, v[0:1]
	v_mov_b32_e32 v0, v19
	v_add_co_u32 v1, s0, v6, v1
	v_lshlrev_b64_e32 v[4:5], 4, v[9:10]
	s_wait_alu 0xf1ff
	v_add_co_ci_u32_e64 v2, s0, v7, v2, s0
	s_delay_alu instid0(VALU_DEP_3)
	v_mad_co_u64_u32 v[8:9], null, s19, v8, v[0:1]
	v_mov_b32_e32 v16, v3
	v_lshlrev_b64_e32 v[9:10], 4, v[13:14]
	v_add_co_u32 v3, s0, v6, v4
	s_wait_alu 0xf1ff
	v_add_co_ci_u32_e64 v4, s0, v7, v5, s0
	v_mov_b32_e32 v19, v8
	v_lshlrev_b64_e32 v[11:12], 4, v[15:16]
	v_add_co_u32 v8, s0, v6, v9
	s_wait_alu 0xf1ff
	v_add_co_ci_u32_e64 v9, s0, v7, v10, s0
	v_lshlrev_b64_e32 v[13:14], 4, v[18:19]
	s_delay_alu instid0(VALU_DEP_4) | instskip(SKIP_2) | instid1(VALU_DEP_3)
	v_add_co_u32 v10, s0, v6, v11
	s_wait_alu 0xf1ff
	v_add_co_ci_u32_e64 v11, s0, v7, v12, s0
                                        ; implicit-def: $vgpr16_vgpr17
	v_add_co_u32 v12, s0, v6, v13
	s_wait_alu 0xf1ff
	v_add_co_ci_u32_e64 v13, s0, v7, v14, s0
	s_clause 0x4
	global_load_b128 v[96:99], v[1:2], off
	global_load_b128 v[76:79], v[3:4], off
	;; [unrolled: 1-line block ×5, first 2 shown]
                                        ; implicit-def: $vgpr0_vgpr1
                                        ; implicit-def: $vgpr12_vgpr13
                                        ; implicit-def: $vgpr8_vgpr9
                                        ; implicit-def: $vgpr4_vgpr5
	v_cmpx_gt_u32_e32 36, v152
	s_cbranch_execz .LBB0_13
; %bb.12:
	v_add_nc_u32_e32 v4, 39, v152
	v_add_nc_u32_e32 v12, 0x72, v152
	;; [unrolled: 1-line block ×5, first 2 shown]
	v_mad_co_u64_u32 v[0:1], null, s18, v4, 0
	v_mad_co_u64_u32 v[2:3], null, s18, v12, 0
	;; [unrolled: 1-line block ×4, first 2 shown]
	v_add_nc_u32_e32 v19, 0x1e9, v152
	v_add_nc_u32_e32 v31, 0x315, v152
	v_mad_co_u64_u32 v[4:5], null, s19, v4, v[1:2]
	v_add_nc_u32_e32 v105, 0x3ab, v152
	s_delay_alu instid0(VALU_DEP_2) | instskip(SKIP_1) | instid1(VALU_DEP_2)
	v_mov_b32_e32 v1, v4
	v_mad_co_u64_u32 v[12:13], null, s19, v12, v[3:4]
	v_lshlrev_b64_e32 v[0:1], 4, v[0:1]
	s_delay_alu instid0(VALU_DEP_2) | instskip(SKIP_1) | instid1(VALU_DEP_3)
	v_mov_b32_e32 v3, v12
	v_mad_co_u64_u32 v[12:13], null, s19, v14, v[9:10]
	v_add_co_u32 v0, s0, v6, v0
	s_delay_alu instid0(VALU_DEP_3) | instskip(SKIP_2) | instid1(VALU_DEP_4)
	v_lshlrev_b64_e32 v[2:3], 4, v[2:3]
	s_wait_alu 0xf1ff
	v_add_co_ci_u32_e64 v1, s0, v7, v1, s0
	v_mad_co_u64_u32 v[13:14], null, s19, v15, v[11:12]
	v_add_nc_u32_e32 v16, 0x153, v152
	s_delay_alu instid0(VALU_DEP_4)
	v_add_co_u32 v14, s0, v6, v2
	v_mov_b32_e32 v9, v12
	s_wait_alu 0xf1ff
	v_add_co_ci_u32_e64 v15, s0, v7, v3, s0
	v_mov_b32_e32 v11, v13
	v_mad_co_u64_u32 v[4:5], null, s18, v16, 0
	v_lshlrev_b64_e32 v[8:9], 4, v[8:9]
	s_clause 0x1
	global_load_b128 v[0:3], v[0:1], off
	global_load_b128 v[48:51], v[14:15], off
	v_mad_co_u64_u32 v[12:13], null, s18, v17, 0
	v_lshlrev_b64_e32 v[10:11], 4, v[10:11]
	v_mad_co_u64_u32 v[14:15], null, s19, v16, v[5:6]
	v_mad_co_u64_u32 v[15:16], null, s18, v19, 0
	v_add_co_u32 v8, s0, v6, v8
	v_add_nc_u32_e32 v28, 0x234, v152
	s_wait_alu 0xf1ff
	v_add_co_ci_u32_e64 v9, s0, v7, v9, s0
	v_mov_b32_e32 v5, v14
	v_add_co_u32 v10, s0, v6, v10
	v_mad_co_u64_u32 v[13:14], null, s19, v17, v[13:14]
	v_mov_b32_e32 v14, v16
	s_wait_alu 0xf1ff
	v_add_co_ci_u32_e64 v11, s0, v7, v11, s0
	v_mad_co_u64_u32 v[17:18], null, s18, v28, 0
	s_clause 0x1
	global_load_b128 v[88:91], v[8:9], off
	global_load_b128 v[92:95], v[10:11], off
	v_mad_co_u64_u32 v[8:9], null, s19, v19, v[14:15]
	v_add_nc_u32_e32 v19, 0x27f, v152
	v_lshlrev_b64_e32 v[10:11], 4, v[12:13]
	v_lshlrev_b64_e32 v[4:5], 4, v[4:5]
	s_delay_alu instid0(VALU_DEP_3) | instskip(SKIP_1) | instid1(VALU_DEP_3)
	v_mad_co_u64_u32 v[13:14], null, s18, v19, 0
	v_dual_mov_b32 v9, v18 :: v_dual_mov_b32 v16, v8
	v_add_co_u32 v4, s0, v6, v4
	s_wait_alu 0xf1ff
	s_delay_alu instid0(VALU_DEP_4) | instskip(NEXT) | instid1(VALU_DEP_3)
	v_add_co_ci_u32_e64 v5, s0, v7, v5, s0
	v_mad_co_u64_u32 v[8:9], null, s19, v28, v[9:10]
	v_add_co_u32 v9, s0, v6, v10
	s_wait_alu 0xf1ff
	v_add_co_ci_u32_e64 v10, s0, v7, v11, s0
	v_lshlrev_b64_e32 v[11:12], 4, v[15:16]
	s_clause 0x1
	global_load_b128 v[100:103], v[4:5], off
	global_load_b128 v[64:67], v[9:10], off
	v_mov_b32_e32 v18, v8
	v_mov_b32_e32 v8, v14
	v_add_co_u32 v4, s0, v6, v11
	s_delay_alu instid0(VALU_DEP_3) | instskip(SKIP_4) | instid1(VALU_DEP_4)
	v_lshlrev_b64_e32 v[9:10], 4, v[17:18]
	s_wait_alu 0xf1ff
	v_add_co_ci_u32_e64 v5, s0, v7, v12, s0
	v_mad_co_u64_u32 v[17:18], null, s18, v31, 0
	v_add_nc_u32_e32 v30, 0x2ca, v152
	v_mad_co_u64_u32 v[11:12], null, s19, v19, v[8:9]
	v_add_co_u32 v8, s0, v6, v9
	s_wait_alu 0xf1ff
	v_add_co_ci_u32_e64 v9, s0, v7, v10, s0
	s_clause 0x1
	global_load_b128 v[80:83], v[4:5], off
	global_load_b128 v[40:43], v[8:9], off
	v_dual_mov_b32 v14, v11 :: v_dual_mov_b32 v11, v18
	v_mad_co_u64_u32 v[15:16], null, s18, v30, 0
	s_delay_alu instid0(VALU_DEP_2) | instskip(NEXT) | instid1(VALU_DEP_2)
	v_lshlrev_b64_e32 v[8:9], 4, v[13:14]
	v_mov_b32_e32 v10, v16
	s_delay_alu instid0(VALU_DEP_2) | instskip(SKIP_1) | instid1(VALU_DEP_3)
	v_add_co_u32 v8, s0, v6, v8
	s_wait_alu 0xf1ff
	v_add_co_ci_u32_e64 v9, s0, v7, v9, s0
	s_delay_alu instid0(VALU_DEP_3) | instskip(SKIP_3) | instid1(VALU_DEP_1)
	v_mad_co_u64_u32 v[18:19], null, s19, v30, v[10:11]
	v_mad_co_u64_u32 v[10:11], null, s19, v31, v[11:12]
	;; [unrolled: 1-line block ×3, first 2 shown]
	v_add_nc_u32_e32 v104, 0x360, v152
	v_mad_co_u64_u32 v[28:29], null, s18, v104, 0
	s_delay_alu instid0(VALU_DEP_1) | instskip(NEXT) | instid1(VALU_DEP_1)
	v_mov_b32_e32 v4, v29
	v_mad_co_u64_u32 v[4:5], null, s19, v104, v[4:5]
	v_dual_mov_b32 v5, v12 :: v_dual_mov_b32 v16, v18
	s_delay_alu instid0(VALU_DEP_2) | instskip(NEXT) | instid1(VALU_DEP_2)
	v_dual_mov_b32 v18, v10 :: v_dual_mov_b32 v29, v4
	v_lshlrev_b64_e32 v[12:13], 4, v[15:16]
	s_delay_alu instid0(VALU_DEP_3) | instskip(NEXT) | instid1(VALU_DEP_3)
	v_mad_co_u64_u32 v[14:15], null, s19, v105, v[5:6]
	v_lshlrev_b64_e32 v[15:16], 4, v[17:18]
	s_delay_alu instid0(VALU_DEP_4) | instskip(NEXT) | instid1(VALU_DEP_4)
	v_lshlrev_b64_e32 v[17:18], 4, v[28:29]
	v_add_co_u32 v4, s0, v6, v12
	s_wait_alu 0xf1ff
	v_add_co_ci_u32_e64 v5, s0, v7, v13, s0
	v_mov_b32_e32 v12, v14
	v_add_co_u32 v13, s0, v6, v15
	s_wait_alu 0xf1ff
	v_add_co_ci_u32_e64 v14, s0, v7, v16, s0
	s_delay_alu instid0(VALU_DEP_3) | instskip(SKIP_3) | instid1(VALU_DEP_3)
	v_lshlrev_b64_e32 v[10:11], 4, v[11:12]
	v_add_co_u32 v104, s0, v6, v17
	s_wait_alu 0xf1ff
	v_add_co_ci_u32_e64 v105, s0, v7, v18, s0
	v_add_co_u32 v6, s0, v6, v10
	s_wait_alu 0xf1ff
	v_add_co_ci_u32_e64 v7, s0, v7, v11, s0
	s_clause 0x4
	global_load_b128 v[28:31], v[8:9], off
	global_load_b128 v[16:19], v[4:5], off
	;; [unrolled: 1-line block ×5, first 2 shown]
.LBB0_13:
	s_wait_alu 0xfffe
	s_or_b32 exec_lo, exec_lo, s4
.LBB0_14:
	s_delay_alu instid0(SALU_CYCLE_1)
	s_or_b32 exec_lo, exec_lo, s1
	s_wait_loadcnt 0xb
	v_add_f64_e32 v[104:105], v[60:61], v[20:21]
	s_wait_loadcnt 0x0
	v_add_f64_e64 v[107:108], v[62:63], -v[26:27]
	v_add_f64_e64 v[109:110], v[50:51], -v[6:7]
	s_mov_b32 s22, 0x2ef20147
	s_mov_b32 s24, 0x24c2f84
	;; [unrolled: 1-line block ×12, first 2 shown]
	v_add_f64_e32 v[113:114], v[24:25], v[60:61]
	v_add_f64_e64 v[117:118], v[86:87], -v[38:39]
	v_add_f64_e64 v[111:112], v[90:91], -v[10:11]
	v_add_f64_e32 v[123:124], v[4:5], v[48:49]
	s_mov_b32 s12, 0xb2365da1
	s_mov_b32 s10, 0xd0032e0c
	;; [unrolled: 1-line block ×15, first 2 shown]
	s_wait_alu 0xfffe
	s_mov_b32 s40, s24
	s_mov_b32 s28, s38
	;; [unrolled: 1-line block ×3, first 2 shown]
	v_add_f64_e32 v[125:126], v[36:37], v[84:85]
	v_add_f64_e32 v[104:105], v[84:85], v[104:105]
	v_mul_f64_e32 v[119:120], s[22:23], v[107:108]
	v_mul_f64_e32 v[127:128], s[24:25], v[107:108]
	;; [unrolled: 1-line block ×7, first 2 shown]
	v_add_f64_e64 v[144:145], v[74:75], -v[46:47]
	v_add_f64_e64 v[107:108], v[94:95], -v[14:15]
	v_add_f64_e32 v[131:132], v[8:9], v[88:89]
	s_mov_b32 s47, 0x3fedeba7
	s_mov_b32 s46, s22
	v_add_f64_e32 v[146:147], v[44:45], v[72:73]
	v_add_f64_e64 v[155:156], v[70:71], -v[78:79]
	s_mov_b32 s43, 0x3fcea1e5
	v_mul_f64_e32 v[148:149], s[40:41], v[117:118]
	s_wait_alu 0xfffe
	v_mul_f64_e32 v[150:151], s[28:29], v[117:118]
	v_mul_f64_e32 v[153:154], s[30:31], v[117:118]
	;; [unrolled: 1-line block ×6, first 2 shown]
	s_mov_b32 s37, 0x3fea55e2
	s_mov_b32 s42, s26
	;; [unrolled: 1-line block ×3, first 2 shown]
	v_add_f64_e32 v[161:162], v[76:77], v[68:69]
	v_add_f64_e64 v[163:164], v[34:35], -v[98:99]
	v_mul_hi_u32 v135, 0xaaaaaaab, v106
	v_cmp_gt_u32_e64 s0, 36, v152
	s_delay_alu instid0(VALU_DEP_2)
	v_lshrrev_b32_e32 v135, 1, v135
	v_add_f64_e32 v[104:105], v[72:73], v[104:105]
	v_fma_f64 v[165:166], v[113:114], s[12:13], v[119:120]
	v_fma_f64 v[167:168], v[113:114], s[10:11], v[127:128]
	v_fma_f64 v[169:170], v[113:114], s[4:5], v[129:130]
	v_fma_f64 v[171:172], v[113:114], s[4:5], -v[129:130]
	v_fma_f64 v[173:174], v[113:114], s[18:19], -v[133:134]
	;; [unrolled: 1-line block ×3, first 2 shown]
	v_fma_f64 v[179:180], v[113:114], s[20:21], v[142:143]
	v_fma_f64 v[138:139], v[113:114], s[14:15], v[138:139]
	v_fma_f64 v[142:143], v[113:114], s[20:21], -v[142:143]
	v_fma_f64 v[181:182], v[123:124], s[20:21], -v[115:116]
	;; [unrolled: 1-line block ×4, first 2 shown]
	v_fma_f64 v[133:134], v[113:114], s[18:19], v[133:134]
	v_add_f64_e32 v[129:130], v[12:13], v[92:93]
	v_add_f64_e64 v[113:114], v[102:103], -v[18:19]
	v_mul_f64_e32 v[183:184], s[30:31], v[144:145]
	v_mul_f64_e32 v[185:186], s[34:35], v[144:145]
	v_mul_f64_e32 v[187:188], s[24:25], v[144:145]
	v_mul_f64_e32 v[189:190], s[26:27], v[144:145]
	v_mul_f64_e32 v[191:192], s[46:47], v[144:145]
	v_mul_f64_e32 v[144:145], s[38:39], v[144:145]
	v_mul_f64_e32 v[119:120], s[38:39], v[107:108]
	v_fma_f64 v[193:194], v[125:126], s[10:11], v[148:149]
	v_fma_f64 v[195:196], v[125:126], s[14:15], v[150:151]
	;; [unrolled: 1-line block ×3, first 2 shown]
	v_fma_f64 v[153:154], v[125:126], s[20:21], -v[153:154]
	v_fma_f64 v[199:200], v[125:126], s[12:13], -v[157:158]
	;; [unrolled: 1-line block ×3, first 2 shown]
	v_fma_f64 v[203:204], v[125:126], s[18:19], v[117:118]
	v_fma_f64 v[159:160], v[125:126], s[4:5], v[159:160]
	v_fma_f64 v[117:118], v[125:126], s[18:19], -v[117:118]
	v_fma_f64 v[205:206], v[131:132], s[18:19], -v[121:122]
	;; [unrolled: 1-line block ×4, first 2 shown]
	v_fma_f64 v[157:158], v[125:126], s[12:13], v[157:158]
	v_mul_f64_e32 v[209:210], s[38:39], v[155:156]
	v_mul_f64_e32 v[211:212], s[42:43], v[155:156]
	v_add_f64_e32 v[104:105], v[68:69], v[104:105]
	v_add_f64_e32 v[165:166], v[20:21], v[165:166]
	;; [unrolled: 1-line block ×15, first 2 shown]
	v_add_f64_e64 v[20:21], v[66:67], -v[30:31]
	s_wait_alu 0xfffe
	v_mul_f64_e32 v[213:214], s[36:37], v[155:156]
	v_mul_f64_e32 v[215:216], s[40:41], v[155:156]
	;; [unrolled: 1-line block ×5, first 2 shown]
	v_fma_f64 v[219:220], v[146:147], s[20:21], v[183:184]
	v_fma_f64 v[221:222], v[146:147], s[18:19], v[185:186]
	;; [unrolled: 1-line block ×3, first 2 shown]
	v_fma_f64 v[187:188], v[146:147], s[10:11], -v[187:188]
	v_fma_f64 v[225:226], v[146:147], s[4:5], -v[189:190]
	;; [unrolled: 1-line block ×5, first 2 shown]
	v_fma_f64 v[229:230], v[146:147], s[14:15], v[144:145]
	v_fma_f64 v[189:190], v[146:147], s[4:5], v[189:190]
	;; [unrolled: 1-line block ×3, first 2 shown]
	v_fma_f64 v[144:145], v[146:147], s[14:15], -v[144:145]
	v_lshl_add_u32 v135, v135, 1, v135
	s_delay_alu instid0(VALU_DEP_1)
	v_sub_nc_u32_e32 v106, v106, v135
	v_add_f64_e32 v[104:105], v[32:33], v[104:105]
	v_add_f64_e32 v[146:147], v[193:194], v[165:166]
	v_fma_f64 v[165:166], v[129:130], s[14:15], -v[119:120]
	v_add_f64_e32 v[167:168], v[195:196], v[167:168]
	v_add_f64_e32 v[169:170], v[197:198], v[169:170]
	;; [unrolled: 1-line block ×13, first 2 shown]
	v_add_f64_e64 v[181:182], v[54:55], -v[58:59]
	v_add_f64_e32 v[142:143], v[28:29], v[64:65]
	v_add_f64_e64 v[117:118], v[82:83], -v[42:43]
	v_mul_f64_e32 v[193:194], s[42:43], v[163:164]
	v_mul_f64_e32 v[195:196], s[30:31], v[163:164]
	v_mul_f64_e32 v[197:198], s[22:23], v[163:164]
	v_mul_f64_e32 v[199:200], s[28:29], v[163:164]
	v_mul_f64_e32 v[201:202], s[34:35], v[163:164]
	v_mul_f64_e32 v[163:164], s[24:25], v[163:164]
	v_mul_f64_e32 v[127:128], s[24:25], v[20:21]
	v_fma_f64 v[203:204], v[161:162], s[14:15], v[209:210]
	v_fma_f64 v[205:206], v[161:162], s[4:5], v[211:212]
	;; [unrolled: 1-line block ×3, first 2 shown]
	v_fma_f64 v[213:214], v[161:162], s[18:19], -v[213:214]
	v_fma_f64 v[231:232], v[161:162], s[10:11], -v[215:216]
	;; [unrolled: 1-line block ×5, first 2 shown]
	v_fma_f64 v[235:236], v[161:162], s[12:13], v[155:156]
	v_fma_f64 v[215:216], v[161:162], s[10:11], v[215:216]
	;; [unrolled: 1-line block ×3, first 2 shown]
	v_fma_f64 v[155:156], v[161:162], s[12:13], -v[155:156]
	v_add_f64_e32 v[104:105], v[52:53], v[104:105]
	v_add_f64_e32 v[146:147], v[219:220], v[146:147]
	v_fma_f64 v[161:162], v[133:134], s[12:13], -v[125:126]
	v_add_f64_e32 v[167:168], v[221:222], v[167:168]
	v_add_f64_e32 v[169:170], v[223:224], v[169:170]
	;; [unrolled: 1-line block ×5, first 2 shown]
	v_mad_u32_u24 v135, 0x68, v152, 0
	v_add_f64_e32 v[159:160], v[144:145], v[159:160]
	v_add_f64_e32 v[165:166], v[165:166], v[177:178]
	;; [unrolled: 1-line block ×9, first 2 shown]
	v_mul_f64_e32 v[185:186], s[36:37], v[181:182]
	v_mul_f64_e32 v[187:188], s[22:23], v[181:182]
	;; [unrolled: 1-line block ×6, first 2 shown]
	v_fma_f64 v[221:222], v[179:180], s[4:5], v[193:194]
	v_fma_f64 v[223:224], v[179:180], s[20:21], v[195:196]
	;; [unrolled: 1-line block ×3, first 2 shown]
	v_fma_f64 v[197:198], v[179:180], s[12:13], -v[197:198]
	v_fma_f64 v[227:228], v[179:180], s[14:15], -v[199:200]
	v_fma_f64 v[229:230], v[179:180], s[18:19], -v[201:202]
	v_fma_f64 v[193:194], v[179:180], s[4:5], -v[193:194]
	v_fma_f64 v[195:196], v[179:180], s[20:21], -v[195:196]
	v_fma_f64 v[237:238], v[179:180], s[10:11], v[163:164]
	v_fma_f64 v[199:200], v[179:180], s[14:15], v[199:200]
	;; [unrolled: 1-line block ×3, first 2 shown]
	v_fma_f64 v[163:164], v[179:180], s[10:11], -v[163:164]
	v_mul_f64_e32 v[138:139], s[26:27], v[117:118]
	v_fma_f64 v[179:180], v[142:143], s[10:11], -v[127:128]
	v_add_f64_e32 v[104:105], v[56:57], v[104:105]
	v_add_f64_e32 v[146:147], v[203:204], v[146:147]
	;; [unrolled: 1-line block ×14, first 2 shown]
	v_fma_f64 v[161:162], v[177:178], s[18:19], v[185:186]
	v_fma_f64 v[165:166], v[177:178], s[12:13], v[187:188]
	;; [unrolled: 1-line block ×3, first 2 shown]
	v_fma_f64 v[189:190], v[177:178], s[14:15], -v[189:190]
	v_fma_f64 v[205:206], v[177:178], s[20:21], -v[191:192]
	;; [unrolled: 1-line block ×5, first 2 shown]
	v_fma_f64 v[209:210], v[177:178], s[4:5], v[181:182]
	v_fma_f64 v[191:192], v[177:178], s[20:21], v[191:192]
	v_fma_f64 v[211:212], v[177:178], s[10:11], v[219:220]
	v_fma_f64 v[177:178], v[177:178], s[4:5], -v[181:182]
	v_fma_f64 v[181:182], v[144:145], s[4:5], -v[138:139]
	v_add_f64_e32 v[104:105], v[96:97], v[104:105]
	v_add_f64_e32 v[146:147], v[221:222], v[146:147]
	;; [unrolled: 1-line block ×16, first 2 shown]
	v_mul_u32_u24_e32 v146, 0x3cf, v106
	v_add_f64_e32 v[163:164], v[165:166], v[167:168]
	v_add_f64_e32 v[165:166], v[203:204], v[169:170]
	;; [unrolled: 1-line block ×5, first 2 shown]
	v_lshl_add_u32 v135, v146, 3, v135
	v_add_f64_e32 v[155:156], v[177:178], v[155:156]
	v_add_f64_e32 v[147:148], v[185:186], v[148:149]
	;; [unrolled: 1-line block ×7, first 2 shown]
	s_delay_alu instid0(VALU_DEP_1) | instskip(NEXT) | instid1(VALU_DEP_1)
	v_add_f64_e32 v[104:105], v[36:37], v[104:105]
	v_add_f64_e32 v[173:174], v[24:25], v[104:105]
	;; [unrolled: 1-line block ×3, first 2 shown]
	ds_store_2addr_b64 v135, v[161:162], v[163:164] offset0:4 offset1:5
	ds_store_2addr_b64 v135, v[165:166], v[153:154] offset0:6 offset1:7
	;; [unrolled: 1-line block ×4, first 2 shown]
	ds_store_2addr_b64 v135, v[173:174], v[171:172] offset1:1
	ds_store_2addr_b64 v135, v[157:158], v[175:176] offset0:2 offset1:3
	ds_store_b64 v135, v[155:156] offset:96
	s_and_saveexec_b32 s1, s0
	s_cbranch_execz .LBB0_16
; %bb.15:
	v_add_f64_e32 v[147:148], v[48:49], v[0:1]
	v_mul_f64_e32 v[149:150], s[4:5], v[123:124]
	v_mul_f64_e32 v[153:154], s[10:11], v[123:124]
	;; [unrolled: 1-line block ×17, first 2 shown]
	v_add_f64_e32 v[147:148], v[88:89], v[147:148]
	v_fma_f64 v[171:172], v[109:110], s[42:43], v[149:150]
	v_fma_f64 v[149:150], v[109:110], s[26:27], v[149:150]
	;; [unrolled: 1-line block ×10, first 2 shown]
	v_add_f64_e32 v[115:116], v[115:116], v[123:124]
	v_mul_f64_e32 v[159:160], s[10:11], v[129:130]
	v_fma_f64 v[187:188], v[111:112], s[44:45], v[161:162]
	v_fma_f64 v[161:162], v[111:112], s[30:31], v[161:162]
	;; [unrolled: 1-line block ×10, first 2 shown]
	v_add_f64_e32 v[121:122], v[121:122], v[131:132]
	v_fma_f64 v[203:204], v[107:108], s[36:37], v[181:182]
	v_fma_f64 v[181:182], v[107:108], s[34:35], v[181:182]
	;; [unrolled: 1-line block ×6, first 2 shown]
	v_add_f64_e32 v[147:148], v[92:93], v[147:148]
	v_add_f64_e32 v[131:132], v[0:1], v[171:172]
	v_add_f64_e32 v[149:150], v[0:1], v[149:150]
	v_add_f64_e32 v[169:170], v[0:1], v[173:174]
	v_add_f64_e32 v[153:154], v[0:1], v[153:154]
	v_add_f64_e32 v[171:172], v[0:1], v[175:176]
	v_add_f64_e32 v[173:174], v[0:1], v[177:178]
	v_add_f64_e32 v[175:176], v[0:1], v[179:180]
	v_add_f64_e32 v[155:156], v[0:1], v[155:156]
	v_add_f64_e32 v[157:158], v[0:1], v[157:158]
	v_add_f64_e32 v[109:110], v[0:1], v[109:110]
	v_add_f64_e32 v[0:1], v[0:1], v[115:116]
	v_mul_f64_e32 v[177:178], s[18:19], v[133:134]
	v_mul_f64_e32 v[179:180], s[4:5], v[133:134]
	v_fma_f64 v[201:202], v[107:108], s[40:41], v[159:160]
	v_fma_f64 v[159:160], v[107:108], s[24:25], v[159:160]
	v_add_f64_e32 v[147:148], v[100:101], v[147:148]
	v_add_f64_e32 v[111:112], v[111:112], v[175:176]
	v_add_f64_e32 v[155:156], v[165:166], v[155:156]
	v_add_f64_e32 v[157:158], v[193:194], v[157:158]
	v_mul_f64_e32 v[165:166], s[20:21], v[142:143]
	v_add_f64_e32 v[0:1], v[121:122], v[0:1]
	v_mul_f64_e32 v[121:122], s[10:11], v[142:143]
	v_fma_f64 v[175:176], v[113:114], s[26:27], v[179:180]
	v_add_f64_e32 v[147:148], v[64:65], v[147:148]
	s_delay_alu instid0(VALU_DEP_3) | instskip(NEXT) | instid1(VALU_DEP_2)
	v_add_f64_e32 v[121:122], v[127:128], v[121:122]
	v_add_f64_e32 v[123:124], v[80:81], v[147:148]
	v_mul_f64_e32 v[147:148], s[14:15], v[129:130]
	v_mul_f64_e32 v[129:130], s[4:5], v[129:130]
	s_delay_alu instid0(VALU_DEP_3) | instskip(SKIP_2) | instid1(VALU_DEP_4)
	v_add_f64_e32 v[115:116], v[40:41], v[123:124]
	v_mul_f64_e32 v[123:124], s[12:13], v[133:134]
	v_mul_f64_e32 v[133:134], s[10:11], v[133:134]
	v_fma_f64 v[209:210], v[107:108], s[42:43], v[129:130]
	v_fma_f64 v[106:107], v[107:108], s[26:27], v[129:130]
	v_add_f64_e32 v[119:120], v[119:120], v[147:148]
	v_add_f64_e32 v[129:130], v[187:188], v[131:132]
	;; [unrolled: 1-line block ×8, first 2 shown]
	v_mul_f64_e32 v[163:164], s[12:13], v[142:143]
	v_mul_f64_e32 v[167:168], s[4:5], v[142:143]
	;; [unrolled: 1-line block ×4, first 2 shown]
	v_fma_f64 v[171:172], v[113:114], s[34:35], v[177:178]
	v_fma_f64 v[173:174], v[113:114], s[36:37], v[177:178]
	;; [unrolled: 1-line block ×7, first 2 shown]
	v_add_f64_e32 v[115:116], v[28:29], v[115:116]
	v_add_f64_e32 v[123:124], v[125:126], v[123:124]
	v_fma_f64 v[193:194], v[113:114], s[24:25], v[133:134]
	v_fma_f64 v[113:114], v[113:114], s[40:41], v[133:134]
	v_add_f64_e32 v[106:107], v[106:107], v[111:112]
	v_add_f64_e32 v[110:111], v[183:184], v[155:156]
	;; [unrolled: 1-line block ×11, first 2 shown]
	v_mul_f64_e32 v[119:120], s[4:5], v[144:145]
	v_mul_f64_e32 v[155:156], s[14:15], v[144:145]
	;; [unrolled: 1-line block ×6, first 2 shown]
	v_fma_f64 v[181:182], v[20:21], s[46:47], v[163:164]
	v_fma_f64 v[163:164], v[20:21], s[22:23], v[163:164]
	;; [unrolled: 1-line block ×10, first 2 shown]
	v_add_f64_e32 v[115:116], v[16:17], v[115:116]
	v_add_f64_e32 v[106:107], v[113:114], v[106:107]
	;; [unrolled: 1-line block ×12, first 2 shown]
	v_fma_f64 v[123:124], v[117:118], s[38:39], v[155:156]
	v_fma_f64 v[147:148], v[117:118], s[28:29], v[155:156]
	;; [unrolled: 1-line block ×9, first 2 shown]
	v_add_f64_e32 v[114:115], v[12:13], v[115:116]
	v_fma_f64 v[116:117], v[117:118], s[30:31], v[144:145]
	v_add_f64_e32 v[118:119], v[138:139], v[119:120]
	v_add_f64_e32 v[20:21], v[20:21], v[106:107]
	;; [unrolled: 1-line block ×24, first 2 shown]
	v_add_nc_u32_e32 v117, 0xfe8, v135
	v_add_nc_u32_e32 v118, 0xff8, v135
	;; [unrolled: 1-line block ×6, first 2 shown]
	v_add_f64_e32 v[112:113], v[4:5], v[112:113]
	ds_store_2addr_b64 v117, v[20:21], v[128:129] offset1:1
	ds_store_2addr_b64 v118, v[106:107], v[124:125] offset1:1
	;; [unrolled: 1-line block ×6, first 2 shown]
	ds_store_b64 v135, v[104:105] offset:4152
.LBB0_16:
	s_wait_alu 0xfffe
	s_or_b32 exec_lo, exec_lo, s1
	v_add_f64_e32 v[0:1], v[62:63], v[22:23]
	v_add_f64_e64 v[20:21], v[60:61], -v[24:25]
	v_add_f64_e64 v[120:121], v[48:49], -v[4:5]
	;; [unrolled: 1-line block ×3, first 2 shown]
	v_add_f64_e32 v[24:25], v[26:27], v[62:63]
	v_add_f64_e64 v[116:117], v[88:89], -v[8:9]
	v_add_f64_e32 v[114:115], v[6:7], v[50:51]
	v_add_f64_e64 v[44:45], v[72:73], -v[44:45]
	;; [unrolled: 2-line block ×5, first 2 shown]
	v_add_f64_e64 v[32:33], v[32:33], -v[96:97]
	v_add_f64_e64 v[64:65], v[64:65], -v[28:29]
	;; [unrolled: 1-line block ×3, first 2 shown]
	global_wb scope:SCOPE_SE
	s_wait_dscnt 0x0
	s_wait_kmcnt 0x0
	s_barrier_signal -1
	s_barrier_wait -1
	global_inv scope:SCOPE_SE
	v_add_f64_e32 v[0:1], v[86:87], v[0:1]
	v_mul_f64_e32 v[8:9], s[44:45], v[20:21]
	v_mul_f64_e32 v[36:37], s[34:35], v[20:21]
	;; [unrolled: 1-line block ×27, first 2 shown]
	v_add_f64_e32 v[0:1], v[74:75], v[0:1]
	v_fma_f64 v[124:125], v[24:25], s[20:21], -v[8:9]
	v_fma_f64 v[126:127], v[24:25], s[18:19], -v[36:37]
	v_fma_f64 v[36:37], v[24:25], s[18:19], v[36:37]
	v_fma_f64 v[128:129], v[24:25], s[12:13], -v[48:49]
	v_fma_f64 v[48:49], v[24:25], s[12:13], v[48:49]
	v_fma_f64 v[130:131], v[24:25], s[10:11], -v[60:61]
	v_fma_f64 v[132:133], v[24:25], s[4:5], -v[62:63]
	v_fma_f64 v[62:63], v[24:25], s[4:5], v[62:63]
	v_fma_f64 v[60:61], v[24:25], s[10:11], v[60:61]
	;; [unrolled: 1-line block ×3, first 2 shown]
	v_fma_f64 v[20:21], v[24:25], s[14:15], -v[20:21]
	v_fma_f64 v[8:9], v[24:25], s[20:21], v[8:9]
	v_fma_f64 v[24:25], v[114:115], s[20:21], v[118:119]
	v_add_f64_e32 v[74:75], v[46:47], v[74:75]
	v_fma_f64 v[149:150], v[72:73], s[18:19], -v[12:13]
	v_fma_f64 v[12:13], v[72:73], s[18:19], v[12:13]
	v_fma_f64 v[153:154], v[72:73], s[12:13], -v[84:85]
	v_fma_f64 v[84:85], v[72:73], s[12:13], v[84:85]
	;; [unrolled: 2-line block ×6, first 2 shown]
	v_fma_f64 v[72:73], v[108:109], s[18:19], v[112:113]
	v_add_f64_e32 v[0:1], v[70:71], v[0:1]
	v_add_f64_e32 v[124:125], v[22:23], v[124:125]
	;; [unrolled: 1-line block ×16, first 2 shown]
	v_mul_f64_e32 v[70:71], s[40:41], v[68:69]
	v_mul_f64_e32 v[68:69], s[36:37], v[68:69]
	v_fma_f64 v[171:172], v[74:75], s[14:15], -v[16:17]
	v_fma_f64 v[173:174], v[74:75], s[14:15], v[16:17]
	v_fma_f64 v[175:176], v[74:75], s[4:5], -v[76:77]
	v_fma_f64 v[76:77], v[74:75], s[4:5], v[76:77]
	;; [unrolled: 2-line block ×6, first 2 shown]
	v_fma_f64 v[74:75], v[92:93], s[14:15], v[106:107]
	v_mul_f64_e32 v[16:17], s[24:25], v[64:65]
	v_add_f64_e32 v[0:1], v[34:35], v[0:1]
	v_add_f64_e32 v[124:125], v[149:150], v[124:125]
	;; [unrolled: 1-line block ×16, first 2 shown]
	v_add_f64_e64 v[12:13], v[80:81], -v[40:41]
	v_mul_f64_e32 v[40:41], s[24:25], v[32:33]
	v_mul_f64_e32 v[72:73], s[34:35], v[32:33]
	;; [unrolled: 1-line block ×3, first 2 shown]
	v_fma_f64 v[122:123], v[24:25], s[12:13], -v[28:29]
	v_fma_f64 v[132:133], v[24:25], s[12:13], v[28:29]
	v_fma_f64 v[138:139], v[24:25], s[10:11], -v[70:71]
	v_fma_f64 v[70:71], v[24:25], s[10:11], v[70:71]
	;; [unrolled: 2-line block ×6, first 2 shown]
	v_fma_f64 v[68:69], v[48:49], s[12:13], v[96:97]
	v_add_f64_e32 v[0:1], v[54:55], v[0:1]
	v_add_f64_e32 v[124:125], v[171:172], v[124:125]
	;; [unrolled: 1-line block ×14, first 2 shown]
	v_mul_f64_e32 v[74:75], s[30:31], v[52:53]
	v_mul_f64_e32 v[86:87], s[24:25], v[52:53]
	;; [unrolled: 1-line block ×5, first 2 shown]
	v_fma_f64 v[144:145], v[34:35], s[10:11], -v[40:41]
	v_fma_f64 v[40:41], v[34:35], s[10:11], v[40:41]
	v_fma_f64 v[147:148], v[34:35], s[14:15], -v[56:57]
	v_fma_f64 v[56:57], v[34:35], s[14:15], v[56:57]
	;; [unrolled: 2-line block ×4, first 2 shown]
	v_add_f64_e32 v[0:1], v[58:59], v[0:1]
	v_mul_f64_e32 v[58:59], s[26:27], v[52:53]
	v_mul_f64_e32 v[52:53], s[28:29], v[52:53]
	v_add_f64_e32 v[36:37], v[70:71], v[36:37]
	v_add_f64_e32 v[70:71], v[155:156], v[76:77]
	;; [unrolled: 1-line block ×12, first 2 shown]
	v_fma_f64 v[68:69], v[54:55], s[20:21], -v[74:75]
	v_fma_f64 v[74:75], v[54:55], s[20:21], v[74:75]
	v_fma_f64 v[126:127], v[54:55], s[18:19], -v[130:131]
	v_fma_f64 v[128:129], v[54:55], s[18:19], v[130:131]
	v_fma_f64 v[130:131], v[54:55], s[12:13], -v[142:143]
	v_lshlrev_b32_e32 v156, 3, v146
	v_add_nc_u32_e32 v155, 39, v152
	v_add_f64_e32 v[0:1], v[98:99], v[0:1]
	v_mul_f64_e32 v[98:99], s[30:31], v[32:33]
	v_mul_f64_e32 v[32:33], s[22:23], v[32:33]
	v_fma_f64 v[62:63], v[54:55], s[4:5], -v[58:59]
	v_fma_f64 v[58:59], v[54:55], s[4:5], v[58:59]
	v_fma_f64 v[138:139], v[54:55], s[14:15], -v[52:53]
	v_fma_f64 v[52:53], v[54:55], s[14:15], v[52:53]
	v_add_f64_e32 v[36:37], v[56:57], v[36:37]
	v_add_f64_e32 v[56:57], v[167:168], v[70:71]
	;; [unrolled: 1-line block ×9, first 2 shown]
	v_fma_f64 v[169:170], v[34:35], s[20:21], -v[98:99]
	v_fma_f64 v[98:99], v[34:35], s[20:21], v[98:99]
	v_fma_f64 v[171:172], v[34:35], s[12:13], -v[32:33]
	v_fma_f64 v[32:33], v[34:35], s[12:13], v[32:33]
	v_fma_f64 v[34:35], v[4:5], s[10:11], v[16:17]
	v_add_f64_e32 v[126:127], v[126:127], v[56:57]
	v_add_f64_e32 v[128:129], v[128:129], v[70:71]
	;; [unrolled: 1-line block ×4, first 2 shown]
	v_fma_f64 v[78:79], v[54:55], s[10:11], -v[86:87]
	v_fma_f64 v[86:87], v[54:55], s[10:11], v[86:87]
	v_fma_f64 v[132:133], v[54:55], s[12:13], v[142:143]
	;; [unrolled: 1-line block ×3, first 2 shown]
	v_add_f64_e32 v[76:77], v[169:170], v[84:85]
	v_add_f64_e32 v[22:23], v[34:35], v[22:23]
	;; [unrolled: 1-line block ×6, first 2 shown]
	v_lshlrev_b32_e32 v34, 3, v152
	v_add_f64_e32 v[98:99], v[62:63], v[122:123]
	v_add_f64_e32 v[122:123], v[68:69], v[124:125]
	v_add_f64_e32 v[124:125], v[74:75], v[36:37]
	s_delay_alu instid0(VALU_DEP_4) | instskip(SKIP_1) | instid1(VALU_DEP_2)
	v_add_nc_u32_e32 v35, 0, v34
	v_add3_u32 v153, 0, v156, v34
	v_add_nc_u32_e32 v154, v35, v156
	s_delay_alu instid0(VALU_DEP_1)
	v_add_nc_u32_e32 v160, 0x1400, v154
	v_add_nc_u32_e32 v161, 0x1800, v154
	v_add_f64_e32 v[0:1], v[38:39], v[0:1]
	v_add_f64_e32 v[38:39], v[40:41], v[46:47]
	;; [unrolled: 1-line block ×3, first 2 shown]
	v_add_nc_u32_e32 v41, 0x800, v154
	v_add_nc_u32_e32 v40, 0x1000, v154
	v_add_f64_e32 v[130:131], v[130:131], v[76:77]
	v_add_f64_e32 v[88:89], v[54:55], v[22:23]
	;; [unrolled: 1-line block ×6, first 2 shown]
	v_add_nc_u32_e32 v80, 0xc00, v154
	v_add_f64_e32 v[146:147], v[26:27], v[0:1]
	v_add_f64_e32 v[150:151], v[58:59], v[38:39]
	ds_load_b64 v[0:1], v153
	ds_load_2addr_b64 v[56:59], v154 offset0:195 offset1:234
	ds_load_2addr_b64 v[24:27], v154 offset0:39 offset1:78
	;; [unrolled: 1-line block ×12, first 2 shown]
	global_wb scope:SCOPE_SE
	s_wait_dscnt 0x0
	s_barrier_signal -1
	s_barrier_wait -1
	global_inv scope:SCOPE_SE
	ds_store_2addr_b64 v135, v[126:127], v[130:131] offset0:4 offset1:5
	ds_store_2addr_b64 v135, v[138:139], v[142:143] offset0:6 offset1:7
	;; [unrolled: 1-line block ×4, first 2 shown]
	ds_store_2addr_b64 v135, v[146:147], v[98:99] offset1:1
	ds_store_2addr_b64 v135, v[122:123], v[148:149] offset0:2 offset1:3
	ds_store_b64 v135, v[150:151] offset:96
	s_and_saveexec_b32 s33, s0
	s_cbranch_execz .LBB0_18
; %bb.17:
	v_add_f64_e32 v[50:51], v[50:51], v[2:3]
	s_mov_b32 s28, 0x42a4c3d2
	s_mov_b32 s26, 0x24c2f84
	;; [unrolled: 1-line block ×7, first 2 shown]
	s_wait_alu 0xfffe
	v_mul_f64_e32 v[122:123], s[36:37], v[120:121]
	s_mov_b32 s41, 0xbfefc445
	s_mov_b32 s22, 0xb2365da1
	;; [unrolled: 1-line block ×14, first 2 shown]
	v_mul_f64_e32 v[126:127], s[36:37], v[116:117]
	s_wait_alu 0xfffe
	v_mul_f64_e32 v[128:129], s[38:39], v[116:117]
	v_mul_f64_e32 v[130:131], s[42:43], v[116:117]
	s_mov_b32 s1, 0x3fbedb7d
	s_mov_b32 s45, 0x3fedeba7
	v_mul_f64_e32 v[144:145], s[38:39], v[110:111]
	v_mul_f64_e32 v[146:147], s[28:29], v[110:111]
	;; [unrolled: 1-line block ×4, first 2 shown]
	v_add_f64_e32 v[50:51], v[90:91], v[50:51]
	v_mul_f64_e32 v[90:91], s[20:21], v[114:115]
	s_mov_b32 s20, 0x2ef20147
	s_mov_b32 s21, 0xbfedeba7
	s_wait_alu 0xfffe
	s_mov_b32 s44, s20
	v_mul_f64_e32 v[98:99], s[20:21], v[120:121]
	v_mul_f64_e32 v[124:125], s[20:21], v[116:117]
	;; [unrolled: 1-line block ×3, first 2 shown]
	v_fma_f64 v[138:139], v[114:115], s[34:35], -v[122:123]
	v_fma_f64 v[122:123], v[114:115], s[34:35], v[122:123]
	v_fma_f64 v[150:151], v[108:109], s[34:35], -v[126:127]
	v_fma_f64 v[126:127], v[108:109], s[34:35], v[126:127]
	;; [unrolled: 2-line block ×5, first 2 shown]
	v_add_f64_e32 v[50:51], v[94:95], v[50:51]
	v_mul_f64_e32 v[94:95], s[28:29], v[120:121]
	v_add_f64_e64 v[90:91], v[90:91], -v[118:119]
	v_fma_f64 v[132:133], v[114:115], s[22:23], -v[98:99]
	v_fma_f64 v[98:99], v[114:115], s[22:23], v[98:99]
	v_fma_f64 v[164:165], v[108:109], s[0:1], -v[116:117]
	v_add_f64_e32 v[122:123], v[2:3], v[122:123]
	v_add_f64_e32 v[50:51], v[102:103], v[50:51]
	v_mul_f64_e32 v[102:103], s[26:27], v[120:121]
	v_mul_f64_e32 v[120:121], s[40:41], v[120:121]
	v_fma_f64 v[118:119], v[114:115], s[18:19], -v[94:95]
	v_fma_f64 v[94:95], v[114:115], s[18:19], v[94:95]
	v_add_f64_e32 v[90:91], v[2:3], v[90:91]
	v_add_f64_e32 v[98:99], v[2:3], v[98:99]
	;; [unrolled: 1-line block ×3, first 2 shown]
	v_mul_f64_e32 v[66:67], s[18:19], v[108:109]
	v_fma_f64 v[134:135], v[114:115], s[24:25], -v[102:103]
	v_fma_f64 v[102:103], v[114:115], s[24:25], v[102:103]
	v_fma_f64 v[142:143], v[114:115], s[0:1], v[120:121]
	v_add_f64_e32 v[94:95], v[2:3], v[94:95]
	v_add_f64_e32 v[98:99], v[130:131], v[98:99]
	;; [unrolled: 1-line block ×3, first 2 shown]
	v_fma_f64 v[81:82], v[114:115], s[0:1], -v[120:121]
	v_mul_f64_e32 v[114:115], s[14:15], v[92:93]
	s_mov_b32 s14, 0xe00740e9
	s_mov_b32 s15, 0x3fec55a7
	v_mul_f64_e32 v[120:121], s[36:37], v[110:111]
	s_wait_alu 0xfffe
	v_mul_f64_e32 v[110:111], s[44:45], v[110:111]
	v_add_f64_e64 v[66:67], v[66:67], -v[112:113]
	v_fma_f64 v[112:113], v[108:109], s[22:23], -v[124:125]
	v_fma_f64 v[124:125], v[108:109], s[22:23], v[124:125]
	v_fma_f64 v[157:158], v[108:109], s[14:15], -v[128:129]
	v_fma_f64 v[128:129], v[108:109], s[14:15], v[128:129]
	v_fma_f64 v[108:109], v[108:109], s[0:1], v[116:117]
	v_add_f64_e32 v[116:117], v[2:3], v[118:119]
	v_add_f64_e32 v[118:119], v[2:3], v[132:133]
	;; [unrolled: 1-line block ×6, first 2 shown]
	s_mov_b32 s37, 0x3fcea1e5
	v_mul_f64_e32 v[142:143], s[40:41], v[100:101]
	s_wait_alu 0xfffe
	v_mul_f64_e32 v[168:169], s[36:37], v[100:101]
	v_fma_f64 v[170:171], v[92:93], s[14:15], -v[144:145]
	v_fma_f64 v[144:145], v[92:93], s[14:15], v[144:145]
	v_add_f64_e32 v[42:43], v[42:43], v[50:51]
	v_add_f64_e32 v[2:3], v[2:3], v[81:82]
	v_mul_f64_e32 v[50:51], s[12:13], v[48:49]
	s_mov_b32 s13, 0x3fea55e2
	s_mov_b32 s12, s28
	v_mul_f64_e32 v[81:82], s[38:39], v[100:101]
	s_wait_alu 0xfffe
	v_mul_f64_e32 v[100:101], s[12:13], v[100:101]
	v_add_f64_e64 v[106:107], v[114:115], -v[106:107]
	v_fma_f64 v[114:115], v[92:93], s[34:35], -v[120:121]
	v_fma_f64 v[120:121], v[92:93], s[34:35], v[120:121]
	v_fma_f64 v[176:177], v[92:93], s[22:23], -v[110:111]
	v_fma_f64 v[92:93], v[92:93], s[22:23], v[110:111]
	v_add_f64_e32 v[66:67], v[66:67], v[90:91]
	v_add_f64_e32 v[90:91], v[112:113], v[116:117]
	;; [unrolled: 1-line block ×9, first 2 shown]
	v_mul_f64_e32 v[122:123], s[28:29], v[64:65]
	v_mul_f64_e32 v[124:125], s[38:39], v[64:65]
	;; [unrolled: 1-line block ×5, first 2 shown]
	v_fma_f64 v[130:131], v[48:49], s[0:1], -v[142:143]
	v_fma_f64 v[132:133], v[48:49], s[0:1], v[142:143]
	v_fma_f64 v[134:135], v[48:49], s[24:25], -v[166:167]
	v_fma_f64 v[138:139], v[48:49], s[24:25], v[166:167]
	v_fma_f64 v[142:143], v[48:49], s[34:35], -v[168:169]
	v_add_f64_e32 v[98:99], v[144:145], v[98:99]
	v_add_f64_e32 v[30:31], v[30:31], v[42:43]
	;; [unrolled: 1-line block ×3, first 2 shown]
	v_mul_f64_e32 v[42:43], s[10:11], v[4:5]
	v_add_f64_e64 v[50:51], v[50:51], -v[96:97]
	v_fma_f64 v[150:151], v[48:49], s[34:35], v[168:169]
	v_fma_f64 v[96:97], v[48:49], s[14:15], -v[81:82]
	v_fma_f64 v[81:82], v[48:49], s[14:15], v[81:82]
	v_fma_f64 v[157:158], v[48:49], s[18:19], -v[100:101]
	v_fma_f64 v[48:49], v[48:49], s[18:19], v[100:101]
	v_add_f64_e32 v[66:67], v[106:107], v[66:67]
	v_add_f64_e32 v[90:91], v[114:115], v[90:91]
	;; [unrolled: 1-line block ×9, first 2 shown]
	v_mul_f64_e32 v[108:109], s[38:39], v[12:13]
	v_mul_f64_e32 v[114:115], s[26:27], v[12:13]
	;; [unrolled: 1-line block ×5, first 2 shown]
	v_fma_f64 v[120:121], v[4:5], s[18:19], v[122:123]
	v_fma_f64 v[144:145], v[4:5], s[22:23], -v[126:127]
	v_fma_f64 v[126:127], v[4:5], s[22:23], v[126:127]
	v_fma_f64 v[146:147], v[4:5], s[0:1], -v[128:129]
	;; [unrolled: 2-line block ×3, first 2 shown]
	v_add_f64_e32 v[18:19], v[18:19], v[30:31]
	v_add_f64_e32 v[2:3], v[176:177], v[2:3]
	v_mul_f64_e32 v[30:31], s[4:5], v[8:9]
	v_add_f64_e64 v[16:17], v[42:43], -v[16:17]
	v_fma_f64 v[42:43], v[4:5], s[18:19], -v[122:123]
	v_fma_f64 v[122:123], v[4:5], s[14:15], -v[124:125]
	v_fma_f64 v[124:125], v[4:5], s[14:15], v[124:125]
	v_fma_f64 v[4:5], v[4:5], s[34:35], v[64:65]
	v_add_f64_e32 v[50:51], v[50:51], v[66:67]
	v_add_f64_e32 v[64:65], v[134:135], v[90:91]
	v_add_f64_e32 v[66:67], v[138:139], v[94:95]
	v_add_f64_e32 v[90:91], v[130:131], v[100:101]
	v_add_f64_e32 v[94:95], v[132:133], v[98:99]
	v_add_f64_e32 v[98:99], v[142:143], v[106:107]
	v_add_f64_e32 v[100:101], v[157:158], v[110:111]
	v_add_f64_e32 v[48:49], v[48:49], v[112:113]
	v_add_f64_e32 v[102:103], v[150:151], v[102:103]
	v_add_f64_e32 v[81:82], v[81:82], v[92:93]
	v_fma_f64 v[92:93], v[8:9], s[24:25], -v[114:115]
	v_fma_f64 v[106:107], v[8:9], s[22:23], -v[116:117]
	v_fma_f64 v[110:111], v[8:9], s[18:19], -v[118:119]
	v_fma_f64 v[112:113], v[8:9], s[18:19], v[118:119]
	v_add_f64_e32 v[14:15], v[14:15], v[18:19]
	v_add_f64_e32 v[2:3], v[96:97], v[2:3]
	v_add_f64_e64 v[18:19], v[30:31], -v[28:29]
	v_fma_f64 v[28:29], v[8:9], s[14:15], -v[108:109]
	v_fma_f64 v[30:31], v[8:9], s[14:15], v[108:109]
	v_fma_f64 v[96:97], v[8:9], s[24:25], v[114:115]
	;; [unrolled: 1-line block ×3, first 2 shown]
	v_fma_f64 v[114:115], v[8:9], s[0:1], -v[12:13]
	v_fma_f64 v[8:9], v[8:9], s[0:1], v[12:13]
	v_add_f64_e32 v[12:13], v[16:17], v[50:51]
	v_add_f64_e32 v[16:17], v[146:147], v[64:65]
	;; [unrolled: 1-line block ×24, first 2 shown]
	v_mul_u32_u24_e32 v10, 0x68, v155
	s_delay_alu instid0(VALU_DEP_1)
	v_add3_u32 v10, 0, v10, v156
	ds_store_2addr_b64 v10, v[18:19], v[28:29] offset0:4 offset1:5
	ds_store_2addr_b64 v10, v[30:31], v[8:9] offset0:6 offset1:7
	;; [unrolled: 1-line block ×4, first 2 shown]
	ds_store_2addr_b64 v10, v[6:7], v[12:13] offset1:1
	ds_store_2addr_b64 v10, v[14:15], v[2:3] offset0:2 offset1:3
	ds_store_b64 v10, v[88:89] offset:96
.LBB0_18:
	s_or_b32 exec_lo, exec_lo, s33
	v_and_b32_e32 v2, 0xff, v152
	v_and_b32_e32 v3, 0xff, v155
	v_add_nc_u32_e32 v157, 0x4e, v152
	v_add_nc_u32_e32 v158, 0x75, v152
	;; [unrolled: 1-line block ×3, first 2 shown]
	v_mul_lo_u16 v2, 0x4f, v2
	v_mul_lo_u16 v4, 0x4f, v3
	v_and_b32_e32 v5, 0xff, v157
	v_and_b32_e32 v162, 0xff, v158
	;; [unrolled: 1-line block ×3, first 2 shown]
	v_lshrrev_b16 v3, 10, v2
	v_lshrrev_b16 v2, 10, v4
	v_mul_lo_u16 v4, 0x4f, v5
	global_wb scope:SCOPE_SE
	s_wait_dscnt 0x0
	v_mul_lo_u16 v7, 0x4f, v163
	v_mul_lo_u16 v5, v3, 13
	;; [unrolled: 1-line block ×3, first 2 shown]
	v_lshrrev_b16 v8, 10, v4
	s_barrier_signal -1
	v_lshrrev_b16 v7, 10, v7
	v_sub_nc_u16 v4, v152, v5
	v_sub_nc_u16 v5, v155, v6
	v_mul_lo_u16 v6, 0x4f, v162
	v_mul_lo_u16 v9, v8, 13
	s_barrier_wait -1
	v_and_b32_e32 v4, 0xff, v4
	v_and_b32_e32 v5, 0xff, v5
	v_lshrrev_b16 v10, 10, v6
	v_sub_nc_u16 v6, v157, v9
	global_inv scope:SCOPE_SE
	v_lshlrev_b32_e32 v42, 6, v4
	v_lshlrev_b32_e32 v11, 6, v5
	v_mul_lo_u16 v9, v10, 13
	v_mul_lo_u16 v43, v7, 13
	v_and_b32_e32 v6, 0xff, v6
	s_clause 0x3
	global_load_b128 v[12:15], v42, s[8:9]
	global_load_b128 v[16:19], v11, s[8:9]
	global_load_b128 v[28:31], v42, s[8:9] offset:32
	global_load_b128 v[48:51], v11, s[8:9] offset:32
	v_sub_nc_u16 v9, v158, v9
	v_lshlrev_b32_e32 v64, 6, v6
	v_sub_nc_u16 v43, v159, v43
	s_clause 0x2
	global_load_b128 v[94:97], v11, s[8:9] offset:16
	global_load_b128 v[100:103], v64, s[8:9] offset:16
	;; [unrolled: 1-line block ×3, first 2 shown]
	v_and_b32_e32 v9, 0xff, v9
	v_and_b32_e32 v11, 0xff, v43
	global_load_b128 v[126:129], v64, s[8:9] offset:48
	s_mov_b32 s4, 0x134454ff
	s_mov_b32 s5, 0xbfee6f0e
	v_lshlrev_b32_e32 v81, 6, v9
	v_lshlrev_b32_e32 v43, 6, v11
	s_clause 0xb
	global_load_b128 v[132:135], v64, s[8:9]
	global_load_b128 v[142:145], v81, s[8:9]
	global_load_b128 v[146:149], v64, s[8:9] offset:32
	global_load_b128 v[164:167], v81, s[8:9] offset:32
	;; [unrolled: 1-line block ×3, first 2 shown]
	global_load_b128 v[168:171], v43, s[8:9]
	global_load_b128 v[172:175], v81, s[8:9] offset:16
	global_load_b128 v[176:179], v43, s[8:9] offset:16
	;; [unrolled: 1-line block ×6, first 2 shown]
	ds_load_2addr_b64 v[192:195], v154 offset0:195 offset1:234
	ds_load_2addr_b64 v[196:199], v40 offset0:73 offset1:112
	;; [unrolled: 1-line block ×10, first 2 shown]
	s_mov_b32 s11, 0x3fee6f0e
	s_wait_alu 0xfffe
	s_mov_b32 s10, s4
	s_mov_b32 s12, 0x4755a5e
	;; [unrolled: 1-line block ×4, first 2 shown]
	s_wait_alu 0xfffe
	s_mov_b32 s14, s12
	s_mov_b32 s18, 0x372fe950
	;; [unrolled: 1-line block ×3, first 2 shown]
	v_and_b32_e32 v8, 0xffff, v8
	v_and_b32_e32 v10, 0xffff, v10
	;; [unrolled: 1-line block ×3, first 2 shown]
	v_lshlrev_b32_e32 v4, 3, v4
	v_lshlrev_b32_e32 v5, 3, v5
	v_mad_u32_u24 v8, 0x208, v8, 0
	v_mad_u32_u24 v10, 0x208, v10, 0
	;; [unrolled: 1-line block ×3, first 2 shown]
	v_cmp_gt_u32_e64 s0, 13, v152
	s_wait_loadcnt_dscnt 0x1309
	v_mul_f64_e32 v[42:43], v[192:193], v[14:15]
	s_wait_loadcnt 0x12
	v_mul_f64_e32 v[81:82], v[194:195], v[18:19]
	s_wait_loadcnt_dscnt 0x1108
	v_mul_f64_e32 v[90:91], v[196:197], v[30:31]
	s_wait_loadcnt 0x10
	v_mul_f64_e32 v[106:107], v[198:199], v[50:51]
	v_mul_f64_e32 v[14:15], v[56:57], v[14:15]
	;; [unrolled: 1-line block ×4, first 2 shown]
	s_wait_loadcnt_dscnt 0xf07
	v_mul_f64_e32 v[112:113], v[200:201], v[96:97]
	s_wait_loadcnt 0xe
	v_mul_f64_e32 v[114:115], v[202:203], v[102:103]
	s_wait_loadcnt_dscnt 0xd06
	v_mul_f64_e32 v[116:117], v[204:205], v[110:111]
	s_wait_loadcnt_dscnt 0x904
	v_mul_f64_e32 v[138:139], v[212:213], v[148:149]
	v_mul_f64_e32 v[118:119], v[206:207], v[128:129]
	s_wait_loadcnt_dscnt 0x703
	v_mul_f64_e32 v[232:233], v[218:219], v[66:67]
	s_wait_loadcnt 0x6
	v_mul_f64_e32 v[234:235], v[216:217], v[170:171]
	s_wait_loadcnt_dscnt 0x502
	v_mul_f64_e32 v[236:237], v[220:221], v[174:175]
	s_wait_loadcnt 0x4
	v_mul_f64_e32 v[238:239], v[222:223], v[178:179]
	s_wait_loadcnt_dscnt 0x301
	v_mul_f64_e32 v[240:241], v[224:225], v[182:183]
	v_mul_f64_e32 v[120:121], v[208:209], v[134:135]
	;; [unrolled: 1-line block ×3, first 2 shown]
	s_wait_loadcnt 0x2
	v_mul_f64_e32 v[242:243], v[226:227], v[186:187]
	v_mul_f64_e32 v[150:151], v[214:215], v[166:167]
	;; [unrolled: 1-line block ×7, first 2 shown]
	v_fma_f64 v[92:93], v[56:57], v[12:13], v[42:43]
	v_mul_f64_e32 v[42:43], v[86:87], v[50:51]
	s_wait_loadcnt_dscnt 0x100
	v_mul_f64_e32 v[50:51], v[230:231], v[124:125]
	v_fma_f64 v[98:99], v[84:85], v[28:29], v[90:91]
	v_mul_f64_e32 v[56:57], v[76:77], v[96:97]
	v_mul_f64_e32 v[90:91], v[78:79], v[102:103]
	v_fma_f64 v[82:83], v[58:59], v[16:17], v[81:82]
	v_fma_f64 v[84:85], v[76:77], v[94:95], v[112:113]
	;; [unrolled: 1-line block ×4, first 2 shown]
	v_mul_f64_e32 v[58:59], v[72:73], v[110:111]
	v_fma_f64 v[78:79], v[60:61], v[146:147], v[138:139]
	s_wait_loadcnt 0x0
	v_mul_f64_e32 v[60:61], v[228:229], v[190:191]
	v_mul_f64_e32 v[96:97], v[68:69], v[134:135]
	v_fma_f64 v[86:87], v[72:73], v[108:109], v[116:117]
	v_fma_f64 v[72:73], v[74:75], v[126:127], v[118:119]
	;; [unrolled: 1-line block ×7, first 2 shown]
	v_mul_f64_e32 v[38:39], v[52:53], v[174:175]
	v_mul_f64_e32 v[52:53], v[54:55], v[178:179]
	;; [unrolled: 1-line block ×3, first 2 shown]
	v_fma_f64 v[120:121], v[44:45], v[180:181], v[240:241]
	v_fma_f64 v[116:117], v[46:47], v[184:185], v[242:243]
	v_mul_f64_e32 v[44:45], v[46:47], v[186:187]
	v_mul_f64_e32 v[46:47], v[34:35], v[124:125]
	v_fma_f64 v[110:111], v[36:37], v[168:169], v[234:235]
	v_mul_f64_e32 v[36:37], v[36:37], v[170:171]
	v_fma_f64 v[70:71], v[62:63], v[164:165], v[150:151]
	v_fma_f64 v[134:135], v[192:193], v[12:13], -v[14:15]
	v_fma_f64 v[62:63], v[196:197], v[28:29], -v[30:31]
	;; [unrolled: 1-line block ×5, first 2 shown]
	v_fma_f64 v[138:139], v[34:35], v[122:123], v[50:51]
	v_fma_f64 v[106:107], v[200:201], v[94:95], -v[56:57]
	v_add_f64_e64 v[94:95], v[82:83], -v[84:85]
	v_add_f64_e64 v[174:175], v[84:85], -v[82:83]
	v_fma_f64 v[30:31], v[204:205], v[108:109], -v[58:59]
	v_add_f64_e32 v[34:35], v[76:77], v[78:79]
	v_fma_f64 v[118:119], v[32:33], v[188:189], v[60:61]
	v_mul_f64_e32 v[32:33], v[32:33], v[190:191]
	v_fma_f64 v[124:125], v[208:209], v[132:133], -v[96:97]
	v_fma_f64 v[60:61], v[206:207], v[126:127], -v[128:129]
	;; [unrolled: 1-line block ×5, first 2 shown]
	v_add_f64_e32 v[90:91], v[24:25], v[82:83]
	v_add_f64_e32 v[12:13], v[130:131], v[98:99]
	v_fma_f64 v[142:143], v[220:221], v[172:173], -v[38:39]
	v_fma_f64 v[150:151], v[222:223], v[176:177], -v[52:53]
	;; [unrolled: 1-line block ×3, first 2 shown]
	v_add_f64_e32 v[42:43], v[68:69], v[120:121]
	v_add_f64_e32 v[96:97], v[26:27], v[74:75]
	v_fma_f64 v[144:145], v[226:227], v[184:185], -v[44:45]
	v_fma_f64 v[28:29], v[230:231], v[122:123], -v[46:47]
	;; [unrolled: 1-line block ×3, first 2 shown]
	v_add_f64_e32 v[16:17], v[84:85], v[80:81]
	v_add_f64_e32 v[18:19], v[82:83], v[86:87]
	v_fma_f64 v[146:147], v[216:217], v[168:169], -v[36:37]
	v_add_f64_e32 v[36:37], v[74:75], v[72:73]
	v_add_f64_e32 v[38:39], v[114:115], v[70:71]
	;; [unrolled: 1-line block ×4, first 2 shown]
	v_add_f64_e64 v[50:51], v[102:103], -v[62:63]
	v_add_f64_e32 v[100:101], v[20:21], v[68:69]
	v_add_f64_e32 v[164:165], v[22:23], v[110:111]
	v_add_f64_e64 v[52:53], v[92:93], -v[130:131]
	v_add_f64_e32 v[14:15], v[92:93], v[138:139]
	v_add_f64_e64 v[54:55], v[138:139], -v[98:99]
	v_add_f64_e64 v[182:183], v[76:77], -v[74:75]
	;; [unrolled: 1-line block ×8, first 2 shown]
	v_fma_f64 v[34:35], v[34:35], -0.5, v[26:27]
	v_add_f64_e64 v[186:187], v[68:69], -v[114:115]
	v_fma_f64 v[148:149], v[228:229], v[188:189], -v[32:33]
	v_add_f64_e32 v[32:33], v[112:113], v[118:119]
	v_add_f64_e64 v[168:169], v[124:125], -v[60:61]
	v_add_f64_e64 v[188:189], v[120:121], -v[70:71]
	v_add_f64_e64 v[190:191], v[114:115], -v[68:69]
	v_add_f64_e64 v[192:193], v[70:71], -v[120:121]
	v_add_f64_e32 v[90:91], v[90:91], v[84:85]
	v_fma_f64 v[12:13], v[12:13], -0.5, v[0:1]
	v_add_f64_e64 v[194:195], v[110:111], -v[112:113]
	v_add_f64_e64 v[196:197], v[116:117], -v[118:119]
	;; [unrolled: 1-line block ×4, first 2 shown]
	v_add_f64_e32 v[96:97], v[96:97], v[76:77]
	v_add_f64_e64 v[200:201], v[118:119], -v[116:117]
	v_add_f64_e64 v[48:49], v[134:135], -v[28:29]
	;; [unrolled: 1-line block ×3, first 2 shown]
	v_fma_f64 v[16:17], v[16:17], -0.5, v[24:25]
	v_fma_f64 v[18:19], v[18:19], -0.5, v[24:25]
	v_add_f64_e64 v[24:25], v[108:109], -v[66:67]
	v_fma_f64 v[26:27], v[36:37], -0.5, v[26:27]
	v_fma_f64 v[38:39], v[38:39], -0.5, v[20:21]
	v_add_f64_e64 v[36:37], v[142:143], -v[132:133]
	v_fma_f64 v[20:21], v[42:43], -0.5, v[20:21]
	v_add_f64_e64 v[172:173], v[146:147], -v[144:145]
	v_add_f64_e32 v[46:47], v[46:47], v[130:131]
	v_add_f64_e32 v[100:101], v[100:101], v[114:115]
	;; [unrolled: 1-line block ×3, first 2 shown]
	v_fma_f64 v[0:1], v[14:15], -0.5, v[0:1]
	v_add_f64_e64 v[14:15], v[106:107], -v[64:65]
	v_add_f64_e32 v[52:53], v[52:53], v[54:55]
	v_add_f64_e32 v[54:55], v[56:57], v[58:59]
	;; [unrolled: 1-line block ×4, first 2 shown]
	v_add_f64_e64 v[42:43], v[150:151], -v[148:149]
	v_fma_f64 v[32:33], v[32:33], -0.5, v[22:23]
	v_fma_f64 v[22:23], v[44:45], -0.5, v[22:23]
	v_add_f64_e64 v[44:45], v[86:87], -v[80:81]
	v_fma_f64 v[210:211], v[168:169], s[4:5], v[34:35]
	v_fma_f64 v[34:35], v[168:169], s[10:11], v[34:35]
	v_add_f64_e32 v[90:91], v[90:91], v[80:81]
	v_add_f64_e32 v[174:175], v[186:187], v[188:189]
	;; [unrolled: 1-line block ×4, first 2 shown]
	v_and_b32_e32 v192, 0xffff, v3
	v_and_b32_e32 v193, 0xffff, v2
	v_add_f64_e32 v[96:97], v[96:97], v[78:79]
	v_add_f64_e32 v[180:181], v[198:199], v[200:201]
	v_fma_f64 v[202:203], v[48:49], s[4:5], v[12:13]
	v_fma_f64 v[12:13], v[48:49], s[10:11], v[12:13]
	;; [unrolled: 1-line block ×10, first 2 shown]
	v_add_f64_e32 v[46:47], v[46:47], v[98:99]
	v_add_f64_e32 v[100:101], v[100:101], v[70:71]
	v_fma_f64 v[204:205], v[50:51], s[10:11], v[0:1]
	v_fma_f64 v[0:1], v[50:51], s[4:5], v[0:1]
	;; [unrolled: 1-line block ×4, first 2 shown]
	v_add_f64_e32 v[164:165], v[164:165], v[118:119]
	v_fma_f64 v[218:219], v[172:173], s[4:5], v[32:33]
	v_fma_f64 v[220:221], v[42:43], s[10:11], v[22:23]
	;; [unrolled: 1-line block ×4, first 2 shown]
	v_add_f64_e32 v[44:45], v[94:95], v[44:45]
	v_add_f64_e32 v[94:95], v[182:183], v[184:185]
	v_fma_f64 v[186:187], v[24:25], s[12:13], v[210:211]
	s_wait_alu 0xfffe
	v_fma_f64 v[34:35], v[24:25], s[14:15], v[34:35]
	v_fma_f64 v[182:183], v[50:51], s[12:13], v[202:203]
	;; [unrolled: 1-line block ×9, first 2 shown]
	v_add_f64_e32 v[2:3], v[46:47], v[138:139]
	v_add_f64_e32 v[46:47], v[96:97], v[72:73]
	v_fma_f64 v[50:51], v[48:49], s[12:13], v[204:205]
	v_fma_f64 v[0:1], v[48:49], s[14:15], v[0:1]
	;; [unrolled: 1-line block ×6, first 2 shown]
	v_add_f64_e32 v[96:97], v[100:101], v[120:121]
	v_add_f64_e32 v[100:101], v[164:165], v[116:117]
	ds_load_b64 v[24:25], v153
	ds_load_2addr_b64 v[16:19], v154 offset0:39 offset1:78
	v_fma_f64 v[170:171], v[42:43], s[12:13], v[218:219]
	v_fma_f64 v[190:191], v[172:173], s[12:13], v[220:221]
	;; [unrolled: 1-line block ×4, first 2 shown]
	v_add_f64_e32 v[42:43], v[90:91], v[86:87]
	v_fma_f64 v[34:35], v[58:59], s[18:19], v[34:35]
	v_fma_f64 v[172:173], v[52:53], s[18:19], v[182:183]
	;; [unrolled: 1-line block ×16, first 2 shown]
	v_mad_u32_u24 v26, 0x208, v192, 0
	v_fma_f64 v[169:170], v[178:179], s[18:19], v[170:171]
	v_fma_f64 v[174:175], v[180:181], s[18:19], v[190:191]
	;; [unrolled: 1-line block ×4, first 2 shown]
	v_mad_u32_u24 v27, 0x208, v193, 0
	v_add3_u32 v164, v26, v4, v156
	v_lshlrev_b32_e32 v4, 3, v6
	v_lshlrev_b32_e32 v6, 3, v11
	ds_load_2addr_b64 v[20:23], v154 offset0:117 offset1:156
	v_add3_u32 v26, v27, v5, v156
	v_lshlrev_b32_e32 v5, 3, v9
	global_wb scope:SCOPE_SE
	s_wait_dscnt 0x0
	s_barrier_signal -1
	s_barrier_wait -1
	global_inv scope:SCOPE_SE
	v_add3_u32 v166, v8, v4, v156
	v_add3_u32 v165, v10, v5, v156
	;; [unrolled: 1-line block ×3, first 2 shown]
	ds_store_2addr_b64 v164, v[2:3], v[172:173] offset1:13
	ds_store_2addr_b64 v164, v[50:51], v[0:1] offset0:26 offset1:39
	ds_store_b64 v164, v[12:13] offset:416
	ds_store_2addr_b64 v26, v[42:43], v[48:49] offset1:13
	ds_store_2addr_b64 v26, v[44:45], v[52:53] offset0:26 offset1:39
	ds_store_b64 v26, v[14:15] offset:416
	;; [unrolled: 3-line block ×5, first 2 shown]
	global_wb scope:SCOPE_SE
	s_wait_dscnt 0x0
	s_barrier_signal -1
	s_barrier_wait -1
	global_inv scope:SCOPE_SE
	ds_load_2addr_b64 v[0:3], v41 offset0:17 offset1:69
	ds_load_2addr_b64 v[32:35], v40 offset0:86 offset1:138
	;; [unrolled: 1-line block ×11, first 2 shown]
	ds_load_b64 v[96:97], v153
	ds_load_b64 v[100:101], v154 offset:7384
                                        ; implicit-def: $vgpr94_vgpr95
	s_and_saveexec_b32 s1, s0
	s_cbranch_execz .LBB0_20
; %bb.19:
	ds_load_b64 v[90:91], v154 offset:2496
	ds_load_b64 v[104:105], v154 offset:5096
	;; [unrolled: 1-line block ×3, first 2 shown]
.LBB0_20:
	s_wait_alu 0xfffe
	s_or_b32 exec_lo, exec_lo, s1
	v_add_f64_e32 v[160:161], v[102:103], v[62:63]
	v_add_f64_e32 v[167:168], v[134:135], v[28:29]
	;; [unrolled: 1-line block ×11, first 2 shown]
	v_add_f64_e64 v[92:93], v[92:93], -v[138:139]
	v_add_f64_e32 v[189:190], v[16:17], v[122:123]
	v_add_f64_e64 v[82:83], v[82:83], -v[86:87]
	v_add_f64_e32 v[86:87], v[18:19], v[124:125]
	v_add_f64_e32 v[191:192], v[20:21], v[128:129]
	;; [unrolled: 1-line block ×3, first 2 shown]
	v_add_f64_e64 v[98:99], v[130:131], -v[98:99]
	v_add_f64_e64 v[80:81], v[84:85], -v[80:81]
	;; [unrolled: 1-line block ×18, first 2 shown]
	global_wb scope:SCOPE_SE
	s_wait_dscnt 0x0
	s_barrier_signal -1
	s_barrier_wait -1
	v_fma_f64 v[160:161], v[160:161], -0.5, v[24:25]
	v_fma_f64 v[24:25], v[167:168], -0.5, v[24:25]
	;; [unrolled: 1-line block ×10, first 2 shown]
	v_add_f64_e64 v[173:174], v[128:129], -v[142:143]
	v_add_f64_e64 v[128:129], v[142:143], -v[128:129]
	;; [unrolled: 1-line block ×4, first 2 shown]
	v_add_f64_e32 v[102:103], v[185:186], v[102:103]
	v_add_f64_e32 v[106:107], v[189:190], v[106:107]
	;; [unrolled: 1-line block ×5, first 2 shown]
	v_add_f64_e64 v[169:170], v[60:61], -v[66:67]
	v_add_f64_e64 v[171:172], v[66:67], -v[60:61]
	;; [unrolled: 1-line block ×6, first 2 shown]
	global_inv scope:SCOPE_SE
	v_add_f64_e32 v[130:131], v[130:131], v[138:139]
	v_add_f64_e32 v[134:135], v[134:135], v[187:188]
	;; [unrolled: 1-line block ×4, first 2 shown]
	v_fma_f64 v[150:151], v[92:93], s[10:11], v[160:161]
	v_fma_f64 v[160:161], v[92:93], s[4:5], v[160:161]
	;; [unrolled: 1-line block ×20, first 2 shown]
	v_add_f64_e32 v[62:63], v[102:103], v[62:63]
	v_add_f64_e32 v[64:65], v[106:107], v[64:65]
	;; [unrolled: 1-line block ×11, first 2 shown]
	v_fma_f64 v[106:107], v[98:99], s[14:15], v[150:151]
	v_fma_f64 v[98:99], v[98:99], s[12:13], v[160:161]
	;; [unrolled: 1-line block ×20, first 2 shown]
	v_add_f64_e32 v[28:29], v[62:63], v[28:29]
	v_add_f64_e32 v[30:31], v[64:65], v[30:31]
	;; [unrolled: 1-line block ×5, first 2 shown]
	v_fma_f64 v[66:67], v[130:131], s[18:19], v[106:107]
	v_fma_f64 v[86:87], v[130:131], s[18:19], v[98:99]
	;; [unrolled: 1-line block ×20, first 2 shown]
	v_add_nc_u32_e32 v108, 0x800, v154
	v_add_nc_u32_e32 v109, 0x1000, v154
	;; [unrolled: 1-line block ×4, first 2 shown]
	ds_store_2addr_b64 v164, v[28:29], v[66:67] offset1:13
	ds_store_2addr_b64 v164, v[98:99], v[24:25] offset0:26 offset1:39
	ds_store_b64 v164, v[86:87] offset:416
	ds_store_2addr_b64 v26, v[30:31], v[102:103] offset1:13
	ds_store_2addr_b64 v26, v[84:85], v[16:17] offset0:26 offset1:39
	ds_store_b64 v26, v[80:81] offset:416
	;; [unrolled: 3-line block ×5, first 2 shown]
	global_wb scope:SCOPE_SE
	s_wait_dscnt 0x0
	s_barrier_signal -1
	s_barrier_wait -1
	global_inv scope:SCOPE_SE
	ds_load_2addr_b64 v[16:19], v108 offset0:17 offset1:69
	ds_load_2addr_b64 v[60:63], v109 offset0:86 offset1:138
	;; [unrolled: 1-line block ×11, first 2 shown]
	ds_load_b64 v[98:99], v153
	ds_load_b64 v[106:107], v154 offset:7384
                                        ; implicit-def: $vgpr102_vgpr103
	s_and_saveexec_b32 s1, s0
	s_cbranch_execz .LBB0_22
; %bb.21:
	ds_load_b64 v[92:93], v154 offset:2496
	ds_load_b64 v[88:89], v154 offset:5096
	ds_load_b64 v[102:103], v154 offset:7696
.LBB0_22:
	s_wait_alu 0xfffe
	s_or_b32 exec_lo, exec_lo, s1
	v_subrev_nc_u32_e32 v110, 26, v152
	v_cmp_gt_u32_e64 s1, 26, v152
	v_dual_mov_b32 v109, 0 :: v_dual_lshlrev_b32 v108, 1, v152
	v_add_nc_u32_e32 v114, 0xea, v152
	v_add_nc_u16 v134, v152, 0xc3
	s_wait_alu 0xf1ff
	v_cndmask_b32_e64 v116, v110, v155, s1
	v_mul_lo_u16 v117, 0xfd, v162
	v_mov_b32_e32 v113, v109
	v_lshlrev_b64_e32 v[110:111], 4, v[108:109]
	v_add_nc_u32_e32 v115, 0x111, v152
	v_lshlrev_b32_e32 v112, 1, v116
	v_mul_lo_u16 v126, 0xfd, v163
	v_lshrrev_b16 v117, 14, v117
	v_add_nc_u32_e32 v108, 26, v108
	v_add_co_u32 v110, s1, s8, v110
	v_lshlrev_b64_e32 v[112:113], 4, v[112:113]
	s_wait_alu 0xf1ff
	v_add_co_ci_u32_e64 v111, s1, s9, v111, s1
	s_clause 0x1
	global_load_b128 v[118:121], v[110:111], off offset:848
	global_load_b128 v[122:125], v[110:111], off offset:832
	v_add_co_u32 v110, s1, s8, v112
	s_wait_alu 0xf1ff
	v_add_co_ci_u32_e64 v111, s1, s9, v113, s1
	v_and_b32_e32 v112, 0xff, v134
	v_and_b32_e32 v113, 0xffff, v114
	v_lshrrev_b16 v126, 14, v126
	v_mul_lo_u16 v127, 0x41, v117
	v_and_b32_e32 v128, 0xffff, v115
	v_mul_lo_u16 v112, 0xfd, v112
	v_mul_u32_u24_e32 v113, 0xfc1, v113
	v_lshlrev_b64_e32 v[108:109], 4, v[108:109]
	v_mul_lo_u16 v126, 0x41, v126
	s_mov_b32 s4, 0xe8584caa
	v_lshrrev_b16 v112, 14, v112
	v_lshrrev_b32_e32 v226, 18, v113
	v_sub_nc_u16 v113, v158, v127
	v_mul_u32_u24_e32 v127, 0xfc1, v128
	v_add_co_u32 v108, s1, s8, v108
	s_wait_alu 0xf1ff
	v_add_co_ci_u32_e64 v109, s1, s9, v109, s1
	v_sub_nc_u16 v126, v159, v126
	v_mul_lo_u16 v112, 0x41, v112
	v_and_b32_e32 v227, 0xff, v113
	v_lshrrev_b32_e32 v113, 18, v127
	v_mul_lo_u16 v135, 0x41, v226
	v_and_b32_e32 v228, 0xff, v126
	s_clause 0x1
	global_load_b128 v[126:129], v[108:109], off offset:848
	global_load_b128 v[130:133], v[108:109], off offset:832
	v_sub_nc_u16 v108, v134, v112
	v_mul_lo_u16 v112, 0x41, v113
	v_sub_nc_u16 v109, v114, v135
	s_clause 0x1
	global_load_b128 v[142:145], v[110:111], off offset:832
	global_load_b128 v[146:149], v[110:111], off offset:848
	v_lshlrev_b32_e32 v113, 5, v227
	v_and_b32_e32 v229, 0xff, v108
	v_sub_nc_u16 v110, v115, v112
	v_and_b32_e32 v230, 0xffff, v109
	v_lshlrev_b32_e32 v114, 5, v228
	s_clause 0x1
	global_load_b128 v[160:163], v113, s[8:9] offset:832
	global_load_b128 v[164:167], v113, s[8:9] offset:848
	v_lshlrev_b32_e32 v108, 5, v229
	v_and_b32_e32 v231, 0xffff, v110
	v_lshlrev_b32_e32 v109, 5, v230
	s_clause 0x1
	global_load_b128 v[168:171], v114, s[8:9] offset:832
	global_load_b128 v[172:175], v114, s[8:9] offset:848
	v_cmp_lt_u32_e64 s1, 25, v152
	s_mov_b32 s5, 0xbfebb67a
	v_lshlrev_b32_e32 v110, 5, v231
	s_clause 0x5
	global_load_b128 v[176:179], v108, s[8:9] offset:832
	global_load_b128 v[180:183], v108, s[8:9] offset:848
	global_load_b128 v[184:187], v109, s[8:9] offset:832
	global_load_b128 v[188:191], v109, s[8:9] offset:848
	global_load_b128 v[192:195], v110, s[8:9] offset:832
	global_load_b128 v[196:199], v110, s[8:9] offset:848
	v_add_nc_u32_e32 v108, 0x138, v152
	s_mov_b32 s11, 0x3febb67a
	s_wait_alu 0xfffe
	s_mov_b32 s10, s4
	s_delay_alu instid0(VALU_DEP_1) | instskip(NEXT) | instid1(VALU_DEP_1)
	v_and_b32_e32 v109, 0xffff, v108
	v_mul_u32_u24_e32 v109, 0xfc1, v109
	s_delay_alu instid0(VALU_DEP_1) | instskip(NEXT) | instid1(VALU_DEP_1)
	v_lshrrev_b32_e32 v109, 18, v109
	v_mul_lo_u16 v109, 0x41, v109
	s_delay_alu instid0(VALU_DEP_1) | instskip(NEXT) | instid1(VALU_DEP_1)
	v_sub_nc_u16 v108, v108, v109
	v_and_b32_e32 v232, 0xffff, v108
	s_delay_alu instid0(VALU_DEP_1)
	v_lshlrev_b32_e32 v108, 5, v232
	s_clause 0x1
	global_load_b128 v[200:203], v108, s[8:9] offset:832
	global_load_b128 v[204:207], v108, s[8:9] offset:848
	global_wb scope:SCOPE_SE
	s_wait_loadcnt_dscnt 0x0
	s_barrier_signal -1
	s_barrier_wait -1
	global_inv scope:SCOPE_SE
	v_mul_f64_e32 v[114:115], v[62:63], v[120:121]
	v_mul_f64_e32 v[112:113], v[18:19], v[124:125]
	v_mul_f64_e32 v[124:125], v[2:3], v[124:125]
	v_mul_f64_e32 v[120:121], v[34:35], v[120:121]
	v_mul_f64_e32 v[138:139], v[86:87], v[128:129]
	v_mul_f64_e32 v[108:109], v[82:83], v[132:133]
	v_mul_f64_e32 v[132:133], v[58:59], v[132:133]
	v_mul_f64_e32 v[128:129], v[54:55], v[128:129]
	v_mul_f64_e32 v[110:111], v[80:81], v[144:145]
	v_mul_f64_e32 v[134:135], v[84:85], v[148:149]
	v_mul_f64_e32 v[144:145], v[56:57], v[144:145]
	v_mul_f64_e32 v[148:149], v[52:53], v[148:149]
	v_mul_f64_e32 v[150:151], v[76:77], v[162:163]
	v_mul_f64_e32 v[210:211], v[72:73], v[166:167]
	v_mul_f64_e32 v[162:163], v[48:49], v[162:163]
	v_mul_f64_e32 v[166:167], v[44:45], v[166:167]
	v_mul_f64_e32 v[208:209], v[78:79], v[170:171]
	v_mul_f64_e32 v[214:215], v[68:69], v[178:179]
	v_mul_f64_e32 v[216:217], v[64:65], v[182:183]
	v_mul_f64_e32 v[212:213], v[74:75], v[174:175]
	v_mul_f64_e32 v[222:223], v[60:61], v[194:195]
	v_mul_f64_e32 v[224:225], v[106:107], v[198:199]
	v_mul_f64_e32 v[218:219], v[70:71], v[186:187]
	v_mul_f64_e32 v[220:221], v[66:67], v[190:191]
	v_mul_f64_e32 v[170:171], v[50:51], v[170:171]
	v_mul_f64_e32 v[178:179], v[36:37], v[178:179]
	v_mul_f64_e32 v[182:183], v[40:41], v[182:183]
	v_mul_f64_e32 v[194:195], v[32:33], v[194:195]
	v_mul_f64_e32 v[174:175], v[46:47], v[174:175]
	v_mul_f64_e32 v[186:187], v[38:39], v[186:187]
	v_mul_f64_e32 v[190:191], v[42:43], v[190:191]
	v_fma_f64 v[54:55], v[54:55], v[126:127], v[138:139]
	v_fma_f64 v[58:59], v[58:59], v[130:131], v[108:109]
	v_fma_f64 v[82:83], v[82:83], v[130:131], -v[132:133]
	v_fma_f64 v[56:57], v[56:57], v[142:143], v[110:111]
	v_fma_f64 v[110:111], v[2:3], v[122:123], v[112:113]
	;; [unrolled: 1-line block ×4, first 2 shown]
	v_mul_f64_e32 v[134:135], v[100:101], v[198:199]
	v_fma_f64 v[2:3], v[62:63], v[118:119], -v[120:121]
	v_fma_f64 v[52:53], v[48:49], v[160:161], v[150:151]
	v_fma_f64 v[108:109], v[44:45], v[164:165], v[210:211]
	v_fma_f64 v[80:81], v[80:81], v[142:143], -v[144:145]
	v_fma_f64 v[34:35], v[72:73], v[164:165], -v[166:167]
	v_fma_f64 v[48:49], v[50:51], v[168:169], v[208:209]
	v_fma_f64 v[44:45], v[36:37], v[176:177], v[214:215]
	;; [unrolled: 1-line block ×8, first 2 shown]
	v_fma_f64 v[100:101], v[18:19], v[122:123], -v[124:125]
	v_fma_f64 v[18:19], v[86:87], v[126:127], -v[128:129]
	;; [unrolled: 1-line block ×11, first 2 shown]
	v_mul_f64_e32 v[126:127], v[88:89], v[202:203]
	v_mul_f64_e32 v[128:129], v[104:105], v[202:203]
	v_mul_f64_e32 v[130:131], v[102:103], v[206:207]
	v_lshlrev_b32_e32 v172, 3, v116
	v_and_b32_e32 v173, 0xffff, v117
	v_lshlrev_b32_e32 v174, 3, v228
	v_add_f64_e32 v[84:85], v[58:59], v[54:55]
	v_add_f64_e32 v[138:139], v[14:15], v[58:59]
	;; [unrolled: 1-line block ×6, first 2 shown]
	v_fma_f64 v[60:61], v[106:107], v[196:197], -v[134:135]
	v_add_f64_e32 v[146:147], v[4:5], v[52:53]
	v_add_f64_e32 v[118:119], v[52:53], v[108:109]
	v_add_f64_e32 v[148:149], v[6:7], v[48:49]
	v_add_f64_e32 v[150:151], v[8:9], v[44:45]
	v_add_f64_e32 v[122:123], v[44:45], v[50:51]
	v_add_f64_e32 v[120:121], v[48:49], v[46:47]
	v_add_f64_e32 v[162:163], v[0:1], v[36:37]
	v_add_f64_e32 v[106:107], v[36:37], v[40:41]
	v_add_f64_e32 v[160:161], v[10:11], v[38:39]
	v_add_f64_e32 v[124:125], v[38:39], v[42:43]
	v_add_f64_e64 v[134:135], v[100:101], -v[2:3]
	v_add_f64_e64 v[142:143], v[82:83], -v[18:19]
	;; [unrolled: 1-line block ×5, first 2 shown]
	v_fma_f64 v[14:15], v[84:85], -0.5, v[14:15]
	v_fma_f64 v[84:85], v[94:95], v[204:205], v[130:131]
	v_add_f64_e32 v[116:117], v[132:133], v[112:113]
	v_fma_f64 v[164:165], v[78:79], -0.5, v[96:97]
	v_fma_f64 v[12:13], v[74:75], -0.5, v[12:13]
	v_cndmask_b32_e64 v74, 0, 0x618, s1
	v_fma_f64 v[78:79], v[104:105], v[200:201], v[126:127]
	v_add_f64_e32 v[126:127], v[144:145], v[114:115]
	v_fma_f64 v[4:5], v[118:119], -0.5, v[4:5]
	v_add_f64_e64 v[118:119], v[68:69], -v[64:65]
	v_add_nc_u32_e32 v97, 0, v74
	v_fma_f64 v[74:75], v[88:89], v[200:201], -v[128:129]
	v_add_f64_e32 v[128:129], v[146:147], v[108:109]
	v_fma_f64 v[8:9], v[122:123], -0.5, v[8:9]
	v_fma_f64 v[6:7], v[120:121], -0.5, v[6:7]
	v_add_f64_e64 v[120:121], v[70:71], -v[66:67]
	v_fma_f64 v[0:1], v[106:107], -0.5, v[0:1]
	v_mul_f64_e32 v[106:107], v[94:95], v[206:207]
	v_fma_f64 v[10:11], v[124:125], -0.5, v[10:11]
	v_add_f64_e64 v[122:123], v[86:87], -v[60:61]
	v_add_f64_e32 v[130:131], v[148:149], v[46:47]
	v_add_f64_e32 v[124:125], v[138:139], v[54:55]
	;; [unrolled: 1-line block ×5, first 2 shown]
	v_mad_u32_u24 v94, 0x618, v173, 0
	v_mad_u32_u24 v105, 0x618, v226, 0
	v_add_nc_u32_e32 v96, 0x68, v154
	v_add3_u32 v95, 0, v174, v156
	v_add3_u32 v97, v97, v172, v156
	v_fma_f64 v[150:151], v[142:143], s[4:5], v[14:15]
	s_wait_alu 0xfffe
	v_fma_f64 v[14:15], v[142:143], s[10:11], v[14:15]
	v_fma_f64 v[146:147], v[134:135], s[4:5], v[164:165]
	;; [unrolled: 1-line block ×11, first 2 shown]
	v_fma_f64 v[88:89], v[102:103], v[204:205], -v[106:107]
	v_fma_f64 v[118:119], v[120:121], s[4:5], v[10:11]
	v_fma_f64 v[10:11], v[120:121], s[10:11], v[10:11]
	;; [unrolled: 1-line block ×4, first 2 shown]
	v_lshlrev_b32_e32 v102, 3, v227
	v_lshlrev_b32_e32 v103, 3, v229
	;; [unrolled: 1-line block ×4, first 2 shown]
	v_add_nc_u32_e32 v106, 0x400, v154
	v_add3_u32 v102, v94, v102, v156
	v_lshlrev_b32_e32 v94, 3, v232
	v_add3_u32 v104, 0, v103, v156
	v_add3_u32 v103, 0, v123, v156
	;; [unrolled: 1-line block ×3, first 2 shown]
	v_add_nc_u32_e32 v107, 0x800, v95
	s_delay_alu instid0(VALU_DEP_4) | instskip(NEXT) | instid1(VALU_DEP_4)
	v_add_nc_u32_e32 v122, 0x1000, v104
	v_add_nc_u32_e32 v123, 0x1800, v103
	ds_store_2addr_b64 v154, v[116:117], v[146:147] offset1:65
	ds_store_b64 v154, v[134:135] offset:1040
	ds_store_2addr_b64 v97, v[126:127], v[148:149] offset1:65
	ds_store_b64 v97, v[12:13] offset:1040
	ds_store_2addr_b64 v106, v[124:125], v[150:151] offset0:80 offset1:145
	ds_store_b64 v154, v[14:15] offset:2704
	ds_store_2addr_b64 v102, v[128:129], v[142:143] offset1:65
	ds_store_b64 v102, v[4:5] offset:1040
	ds_store_2addr_b64 v107, v[130:131], v[160:161] offset0:134 offset1:199
	ds_store_2addr_b64 v122, v[132:133], v[162:163] offset0:73 offset1:138
	ds_store_b64 v95, v[6:7] offset:4160
	ds_store_b64 v104, v[8:9] offset:5720
	ds_store_2addr_b64 v105, v[138:139], v[118:119] offset1:65
	ds_store_b64 v105, v[10:11] offset:1040
	ds_store_2addr_b64 v123, v[144:145], v[120:121] offset0:12 offset1:77
	ds_store_b64 v103, v[0:1] offset:7280
	s_and_saveexec_b32 s1, s0
	s_cbranch_execz .LBB0_24
; %bb.23:
	v_add_f64_e32 v[0:1], v[78:79], v[84:85]
	v_add_f64_e64 v[4:5], v[74:75], -v[88:89]
	v_add_f64_e32 v[6:7], v[90:91], v[78:79]
	s_delay_alu instid0(VALU_DEP_3) | instskip(NEXT) | instid1(VALU_DEP_2)
	v_fma_f64 v[0:1], v[0:1], -0.5, v[90:91]
	v_add_f64_e32 v[6:7], v[6:7], v[84:85]
	s_delay_alu instid0(VALU_DEP_2) | instskip(SKIP_2) | instid1(VALU_DEP_1)
	v_fma_f64 v[8:9], v[4:5], s[4:5], v[0:1]
	v_fma_f64 v[0:1], v[4:5], s[10:11], v[0:1]
	v_add3_u32 v4, 0, v94, v156
	v_add_nc_u32_e32 v5, 0x1800, v4
	ds_store_2addr_b64 v5, v[6:7], v[8:9] offset0:12 offset1:77
	ds_store_b64 v4, v[0:1] offset:7280
.LBB0_24:
	s_wait_alu 0xfffe
	s_or_b32 exec_lo, exec_lo, s1
	v_add_f64_e32 v[0:1], v[100:101], v[2:3]
	v_add_f64_e32 v[4:5], v[80:81], v[32:33]
	;; [unrolled: 1-line block ×9, first 2 shown]
	v_add_f64_e64 v[106:107], v[110:111], -v[112:113]
	v_add_f64_e32 v[68:69], v[24:25], v[68:69]
	v_add_f64_e32 v[70:71], v[26:27], v[70:71]
	;; [unrolled: 1-line block ×3, first 2 shown]
	v_add_f64_e64 v[56:57], v[56:57], -v[114:115]
	v_add_f64_e32 v[72:73], v[22:23], v[72:73]
	v_add_f64_e32 v[82:83], v[30:31], v[82:83]
	;; [unrolled: 1-line block ×3, first 2 shown]
	v_add_f64_e64 v[54:55], v[58:59], -v[54:55]
	v_add_f64_e32 v[86:87], v[16:17], v[86:87]
	v_add_f64_e64 v[44:45], v[44:45], -v[50:51]
	global_wb scope:SCOPE_SE
	s_wait_dscnt 0x0
	s_barrier_signal -1
	s_barrier_wait -1
	global_inv scope:SCOPE_SE
	v_add_nc_u32_e32 v114, 0x400, v96
	v_add_nc_u32_e32 v115, 0x800, v95
	;; [unrolled: 1-line block ×4, first 2 shown]
	v_fma_f64 v[0:1], v[0:1], -0.5, v[98:99]
	v_fma_f64 v[4:5], v[4:5], -0.5, v[28:29]
	;; [unrolled: 1-line block ×3, first 2 shown]
	v_add_f64_e64 v[28:29], v[52:53], -v[108:109]
	v_fma_f64 v[20:21], v[8:9], -0.5, v[20:21]
	v_add_f64_e64 v[30:31], v[48:49], -v[46:47]
	v_fma_f64 v[22:23], v[10:11], -0.5, v[22:23]
	v_fma_f64 v[12:13], v[12:13], -0.5, v[24:25]
	v_add_f64_e64 v[24:25], v[38:39], -v[42:43]
	v_fma_f64 v[14:15], v[14:15], -0.5, v[26:27]
	v_add_f64_e64 v[26:27], v[36:37], -v[40:41]
	v_fma_f64 v[16:17], v[90:91], -0.5, v[16:17]
	v_add_f64_e32 v[48:49], v[100:101], v[2:3]
	v_add_f64_e32 v[64:65], v[68:69], v[64:65]
	;; [unrolled: 1-line block ×7, first 2 shown]
	v_add_nc_u32_e32 v36, 0x800, v154
	v_add_nc_u32_e32 v37, 0x1000, v154
	v_add_f64_e32 v[60:61], v[86:87], v[60:61]
	v_add_nc_u32_e32 v40, 0x1800, v154
	v_add_nc_u32_e32 v41, 0xc00, v154
	ds_load_b64 v[142:143], v153
	ds_load_2addr_b64 v[8:11], v154 offset0:195 offset1:234
	v_fma_f64 v[68:69], v[106:107], s[10:11], v[0:1]
	v_fma_f64 v[70:71], v[106:107], s[4:5], v[0:1]
	;; [unrolled: 1-line block ×11, first 2 shown]
	v_add_nc_u32_e32 v12, 0x1400, v154
	v_fma_f64 v[98:99], v[30:31], s[4:5], v[22:23]
	v_fma_f64 v[106:107], v[24:25], s[10:11], v[14:15]
	;; [unrolled: 1-line block ×5, first 2 shown]
	ds_load_2addr_b64 v[0:3], v154 offset0:39 offset1:78
	ds_load_2addr_b64 v[4:7], v154 offset0:117 offset1:156
	;; [unrolled: 1-line block ×11, first 2 shown]
	global_wb scope:SCOPE_SE
	s_wait_dscnt 0x0
	s_barrier_signal -1
	s_barrier_wait -1
	global_inv scope:SCOPE_SE
	ds_store_2addr_b64 v154, v[48:49], v[68:69] offset1:65
	ds_store_b64 v154, v[70:71] offset:1040
	ds_store_2addr_b64 v97, v[50:51], v[72:73] offset1:65
	ds_store_b64 v97, v[56:57] offset:1040
	ds_store_2addr_b64 v114, v[52:53], v[76:77] offset0:67 offset1:132
	ds_store_b64 v96, v[54:55] offset:2600
	ds_store_2addr_b64 v102, v[58:59], v[80:81] offset1:65
	ds_store_b64 v102, v[82:83] offset:1040
	ds_store_2addr_b64 v115, v[62:63], v[86:87] offset0:134 offset1:199
	ds_store_2addr_b64 v116, v[64:65], v[90:91] offset0:73 offset1:138
	ds_store_b64 v95, v[98:99] offset:4160
	ds_store_b64 v104, v[100:101] offset:5720
	ds_store_2addr_b64 v105, v[66:67], v[106:107] offset1:65
	ds_store_b64 v105, v[108:109] offset:1040
	ds_store_2addr_b64 v117, v[60:61], v[110:111] offset0:12 offset1:77
	ds_store_b64 v103, v[112:113] offset:7280
	s_and_saveexec_b32 s1, s0
	s_cbranch_execz .LBB0_26
; %bb.25:
	v_add_f64_e32 v[48:49], v[74:75], v[88:89]
	v_add_f64_e64 v[50:51], v[78:79], -v[84:85]
	v_add_f64_e32 v[52:53], v[92:93], v[74:75]
	s_mov_b32 s5, 0x3febb67a
	s_mov_b32 s4, 0xe8584caa
	s_delay_alu instid0(VALU_DEP_3) | instskip(NEXT) | instid1(VALU_DEP_2)
	v_fma_f64 v[48:49], v[48:49], -0.5, v[92:93]
	v_add_f64_e32 v[52:53], v[52:53], v[88:89]
	s_wait_alu 0xfffe
	s_delay_alu instid0(VALU_DEP_2) | instskip(SKIP_4) | instid1(VALU_DEP_1)
	v_fma_f64 v[54:55], v[50:51], s[4:5], v[48:49]
	s_mov_b32 s5, 0xbfebb67a
	s_wait_alu 0xfffe
	v_fma_f64 v[48:49], v[50:51], s[4:5], v[48:49]
	v_add3_u32 v50, 0, v94, v156
	v_add_nc_u32_e32 v51, 0x1800, v50
	ds_store_2addr_b64 v51, v[52:53], v[54:55] offset0:12 offset1:77
	ds_store_b64 v50, v[48:49] offset:7280
.LBB0_26:
	s_wait_alu 0xfffe
	s_or_b32 exec_lo, exec_lo, s1
	global_wb scope:SCOPE_SE
	s_wait_dscnt 0x0
	s_barrier_signal -1
	s_barrier_wait -1
	global_inv scope:SCOPE_SE
	s_and_saveexec_b32 s0, vcc_lo
	s_cbranch_execz .LBB0_28
; %bb.27:
	v_mul_hi_u32 v183, 0x50150151, v152
	v_add_nc_u32_e32 v187, 39, v152
	v_add_nc_u32_e32 v188, 0x4e, v152
	v_mul_lo_u32 v151, s3, v136
	v_mul_lo_u32 v181, s2, v137
	v_mad_co_u64_u32 v[185:186], null, s2, v136, 0
	v_mul_hi_u32 v189, 0x50150151, v187
	v_sub_nc_u32_e32 v174, v152, v183
	v_mul_hi_u32 v190, 0x50150151, v188
	v_dual_mov_b32 v93, 0 :: v_dual_lshlrev_b32 v92, 2, v159
	v_lshlrev_b64_e32 v[140:141], 4, v[140:141]
	s_delay_alu instid0(VALU_DEP_4)
	v_lshrrev_b32_e32 v184, 1, v174
	v_add3_u32 v186, v186, v181, v151
	v_sub_nc_u32_e32 v191, v187, v189
	v_lshlrev_b64_e32 v[48:49], 4, v[92:93]
	v_sub_nc_u32_e32 v193, v188, v190
	v_add_nc_u32_e32 v192, v184, v183
	v_lshlrev_b64_e32 v[185:186], 4, v[185:186]
	v_lshrrev_b32_e32 v151, 1, v191
	v_add_nc_u32_e32 v177, 0x1800, v154
	v_add_co_u32 v64, vcc_lo, s8, v48
	v_lshrrev_b32_e32 v191, 7, v192
	v_lshrrev_b32_e32 v192, 1, v193
	v_add_nc_u32_e32 v151, v151, v189
	s_wait_alu 0xfffd
	v_add_co_ci_u32_e32 v65, vcc_lo, s9, v49, vcc_lo
	v_mul_lo_u32 v189, 0xc3, v191
	v_add_nc_u32_e32 v190, v192, v190
	v_lshrrev_b32_e32 v196, 7, v151
	s_mov_b32 s11, 0xbfee6f0e
	s_mov_b32 s2, 0x4755a5e
	;; [unrolled: 1-line block ×3, first 2 shown]
	v_lshrrev_b32_e32 v198, 7, v190
	v_mul_lo_u32 v151, 0xc3, v196
	v_sub_nc_u32_e32 v199, v152, v189
	s_mov_b32 s5, 0x3fe2cf23
	s_wait_alu 0xfffe
	s_mov_b32 s4, s2
	v_mul_lo_u32 v189, 0xc3, v198
	s_mov_b32 s0, 0x372fe950
	v_add_nc_u32_e32 v202, 0xc3, v199
	v_add_nc_u32_e32 v204, 0x186, v199
	v_sub_nc_u32_e32 v151, v187, v151
	v_add_nc_u32_e32 v205, 0x249, v199
	s_mov_b32 s1, 0x3fd3c6ef
	v_sub_nc_u32_e32 v187, v188, v189
	v_mad_co_u64_u32 v[188:189], null, s16, v202, 0
	v_lshlrev_b32_e32 v92, 2, v158
	v_mad_co_u64_u32 v[196:197], null, 0x3cf, v196, v[151:152]
	v_mad_co_u64_u32 v[190:191], null, s16, v204, 0
	;; [unrolled: 1-line block ×3, first 2 shown]
	v_mov_b32_e32 v151, v189
	v_lshlrev_b64_e32 v[50:51], 4, v[92:93]
	v_lshlrev_b32_e32 v92, 2, v157
	v_add_nc_u32_e32 v216, 0x249, v196
	v_mad_co_u64_u32 v[197:198], null, 0x3cf, v198, v[187:188]
	v_add_nc_u32_e32 v215, 0x186, v196
	v_add_co_u32 v66, vcc_lo, s8, v50
	s_wait_alu 0xfffd
	v_add_co_ci_u32_e32 v67, vcc_lo, s9, v51, vcc_lo
	s_clause 0x5
	global_load_b128 v[56:59], v[64:65], off offset:2928
	global_load_b128 v[60:63], v[66:67], off offset:2928
	;; [unrolled: 1-line block ×6, first 2 shown]
	v_lshlrev_b64_e32 v[64:65], 4, v[92:93]
	global_load_b128 v[76:79], v[66:67], off offset:2944
	v_dual_mov_b32 v189, v193 :: v_dual_lshlrev_b32 v92, 2, v155
	v_mad_co_u64_u32 v[210:211], null, s16, v216, 0
	v_add_co_u32 v94, vcc_lo, s8, v64
	s_wait_alu 0xfffd
	v_add_co_ci_u32_e32 v95, vcc_lo, s9, v65, vcc_lo
	s_clause 0x3
	global_load_b128 v[72:75], v[66:67], off offset:2912
	global_load_b128 v[64:67], v[94:95], off offset:2912
	global_load_b128 v[84:87], v[94:95], off offset:2944
	global_load_b128 v[88:91], v[94:95], off offset:2928
	v_add_nc_u32_e32 v206, 0x30c, v199
	v_lshlrev_b64_e32 v[96:97], 4, v[92:93]
	global_load_b128 v[100:103], v[94:95], off offset:2960
	v_add_nc_u32_e32 v217, 0x30c, v196
	v_mad_co_u64_u32 v[200:201], null, s16, v197, 0
	v_mad_co_u64_u32 v[194:195], null, s16, v206, 0
	v_lshlrev_b32_e32 v92, 2, v152
	v_add_co_u32 v94, vcc_lo, s8, v96
	s_wait_alu 0xfffd
	v_add_co_ci_u32_e32 v95, vcc_lo, s9, v97, vcc_lo
	s_delay_alu instid0(VALU_DEP_3)
	v_lshlrev_b64_e32 v[92:93], 4, v[92:93]
	s_clause 0x3
	global_load_b128 v[112:115], v[94:95], off offset:2928
	global_load_b128 v[104:107], v[94:95], off offset:2912
	;; [unrolled: 1-line block ×4, first 2 shown]
	v_mad_co_u64_u32 v[202:203], null, s17, v202, v[151:152]
	v_add_co_u32 v92, vcc_lo, s8, v92
	s_wait_alu 0xfffd
	v_add_co_ci_u32_e32 v93, vcc_lo, s9, v93, vcc_lo
	s_clause 0x3
	global_load_b128 v[120:123], v[92:93], off offset:2928
	global_load_b128 v[124:127], v[92:93], off offset:2912
	;; [unrolled: 1-line block ×4, first 2 shown]
	v_add_co_u32 v185, vcc_lo, s6, v185
	s_wait_alu 0xfffd
	v_add_co_ci_u32_e32 v186, vcc_lo, s7, v186, vcc_lo
	v_mad_co_u64_u32 v[208:209], null, s16, v215, 0
	s_delay_alu instid0(VALU_DEP_3) | instskip(SKIP_1) | instid1(VALU_DEP_3)
	v_add_co_u32 v140, vcc_lo, v185, v140
	s_wait_alu 0xfffd
	v_add_co_ci_u32_e32 v141, vcc_lo, v186, v141, vcc_lo
	v_mad_co_u64_u32 v[185:186], null, s16, v199, 0
	v_mad_co_u64_u32 v[212:213], null, s16, v217, 0
	v_add_nc_u32_e32 v147, 0xc00, v154
	v_add_nc_u32_e32 v173, 0x800, v154
	;; [unrolled: 1-line block ×4, first 2 shown]
	v_mad_co_u64_u32 v[186:187], null, s17, v199, v[186:187]
	v_mad_co_u64_u32 v[198:199], null, s16, v196, 0
	v_dual_mov_b32 v187, v191 :: v_dual_add_nc_u32 v182, 0x1000, v154
	ds_load_2addr_b64 v[96:99], v154 offset0:117 offset1:156
	ds_load_2addr_b64 v[92:95], v154 offset0:39 offset1:78
	;; [unrolled: 1-line block ×3, first 2 shown]
	ds_load_b64 v[144:145], v153
	v_mov_b32_e32 v191, v195
	v_mad_co_u64_u32 v[203:204], null, s17, v204, v[187:188]
	v_mov_b32_e32 v151, v199
	v_mad_co_u64_u32 v[204:205], null, s17, v205, v[189:190]
	v_mov_b32_e32 v187, v201
	v_mov_b32_e32 v189, v202
	s_delay_alu instid0(VALU_DEP_4)
	v_mad_co_u64_u32 v[201:202], null, s17, v196, v[151:152]
	v_add_nc_u32_e32 v214, 0xc3, v196
	v_mov_b32_e32 v196, v209
	v_mov_b32_e32 v202, v213
	ds_load_2addr_b64 v[147:150], v147 offset0:123 offset1:162
	ds_load_2addr_b64 v[153:156], v173 offset0:95 offset1:134
	;; [unrolled: 1-line block ×4, first 2 shown]
	v_mov_b32_e32 v199, v211
	v_mad_co_u64_u32 v[205:206], null, s17, v206, v[191:192]
	v_mad_co_u64_u32 v[206:207], null, s16, v214, 0
	v_mov_b32_e32 v191, v203
	v_mov_b32_e32 v193, v204
	v_mad_co_u64_u32 v[203:204], null, s17, v197, v[187:188]
	v_mov_b32_e32 v195, v205
	v_lshlrev_b64_e32 v[187:188], 4, v[188:189]
	v_mov_b32_e32 v151, v207
	v_lshlrev_b64_e32 v[189:190], 4, v[190:191]
	v_lshlrev_b64_e32 v[191:192], 4, v[192:193]
	v_lshlrev_b64_e32 v[193:194], 4, v[194:195]
	v_mad_co_u64_u32 v[195:196], null, s17, v215, v[196:197]
	v_mad_co_u64_u32 v[204:205], null, s17, v214, v[151:152]
	;; [unrolled: 1-line block ×3, first 2 shown]
	v_mov_b32_e32 v199, v201
	v_mad_co_u64_u32 v[216:217], null, s17, v217, v[202:203]
	v_mov_b32_e32 v201, v203
	ds_load_2addr_b64 v[165:168], v173 offset0:17 offset1:56
	ds_load_2addr_b64 v[169:172], v182 offset0:151 offset1:190
	;; [unrolled: 1-line block ×4, first 2 shown]
	v_dual_mov_b32 v207, v204 :: v_dual_add_nc_u32 v236, 0x186, v197
	v_mul_hi_u32 v233, 0x50150151, v146
	v_mov_b32_e32 v209, v195
	ds_load_2addr_b64 v[181:184], v182 offset0:73 offset1:112
	v_mov_b32_e32 v211, v213
	v_mov_b32_e32 v213, v216
	v_lshlrev_b64_e32 v[185:186], 4, v[185:186]
	v_add_nc_u32_e32 v235, 0xc3, v197
	s_mov_b32 s8, 0x134454ff
	s_mov_b32 s9, 0x3fee6f0e
	s_wait_alu 0xfffe
	s_mov_b32 s10, s8
	v_sub_nc_u32_e32 v234, v146, v233
	v_add_co_u32 v185, vcc_lo, v140, v185
	s_wait_alu 0xfffd
	v_add_co_ci_u32_e32 v186, vcc_lo, v141, v186, vcc_lo
	v_add_co_u32 v187, vcc_lo, v140, v187
	s_wait_alu 0xfffd
	v_add_co_ci_u32_e32 v188, vcc_lo, v141, v188, vcc_lo
	;; [unrolled: 3-line block ×5, first 2 shown]
	s_wait_loadcnt 0x13
	v_mul_f64_e32 v[214:215], v[46:47], v[58:59]
	s_wait_dscnt 0x8
	v_mul_f64_e32 v[58:59], v[149:150], v[58:59]
	s_wait_loadcnt 0x12
	v_mul_f64_e32 v[217:218], v[44:45], v[62:63]
	v_mul_f64_e32 v[62:63], v[147:148], v[62:63]
	s_wait_loadcnt 0x11
	v_mul_f64_e32 v[202:203], v[42:43], v[54:55]
	s_wait_dscnt 0x5
	v_mul_f64_e32 v[54:55], v[163:164], v[54:55]
	s_wait_loadcnt 0x10
	v_mul_f64_e32 v[219:220], v[40:41], v[50:51]
	v_mul_f64_e32 v[50:51], v[161:162], v[50:51]
	s_wait_loadcnt 0xe
	v_mul_f64_e32 v[204:205], v[12:13], v[82:83]
	v_mul_f64_e32 v[82:83], v[157:158], v[82:83]
	;; [unrolled: 1-line block ×3, first 2 shown]
	v_fma_f64 v[149:150], v[149:150], v[56:57], -v[214:215]
	v_fma_f64 v[46:47], v[46:47], v[56:57], v[58:59]
	v_mul_f64_e32 v[56:57], v[153:154], v[70:71]
	v_fma_f64 v[58:59], v[147:148], v[60:61], -v[217:218]
	s_wait_loadcnt 0xd
	v_mul_f64_e32 v[70:71], v[38:39], v[78:79]
	s_wait_dscnt 0x3
	v_mul_f64_e32 v[78:79], v[171:172], v[78:79]
	v_fma_f64 v[44:45], v[44:45], v[60:61], v[62:63]
	s_wait_loadcnt 0xc
	v_mul_f64_e32 v[60:61], v[34:35], v[74:75]
	v_mul_f64_e32 v[62:63], v[167:168], v[74:75]
	v_fma_f64 v[163:164], v[163:164], v[52:53], -v[202:203]
	v_fma_f64 v[42:43], v[42:43], v[52:53], v[54:55]
	s_wait_loadcnt_dscnt 0x902
	v_mul_f64_e32 v[52:53], v[175:176], v[90:91]
	v_lshlrev_b64_e32 v[147:148], 4, v[198:199]
	v_mul_f64_e32 v[198:199], v[32:33], v[66:67]
	v_lshlrev_b64_e32 v[74:75], 4, v[206:207]
	v_lshlrev_b64_e32 v[206:207], 4, v[208:209]
	;; [unrolled: 1-line block ×3, first 2 shown]
	v_mul_f64_e32 v[210:211], v[36:37], v[86:87]
	v_mul_f64_e32 v[216:217], v[30:31], v[90:91]
	s_wait_loadcnt 0x8
	v_mul_f64_e32 v[90:91], v[26:27], v[102:103]
	v_fma_f64 v[161:162], v[161:162], v[48:49], -v[219:220]
	v_mul_f64_e32 v[66:67], v[165:166], v[66:67]
	v_fma_f64 v[40:41], v[40:41], v[48:49], v[50:51]
	s_wait_dscnt 0x1
	v_mul_f64_e32 v[48:49], v[179:180], v[102:103]
	s_wait_loadcnt 0x7
	v_mul_f64_e32 v[50:51], v[28:29], v[114:115]
	s_wait_loadcnt 0x6
	v_mul_f64_e32 v[102:103], v[10:11], v[106:107]
	s_wait_loadcnt 0x5
	v_mul_f64_e32 v[202:203], v[22:23], v[118:119]
	v_fma_f64 v[157:158], v[157:158], v[80:81], -v[204:205]
	v_fma_f64 v[12:13], v[12:13], v[80:81], v[82:83]
	s_wait_loadcnt 0x4
	v_mul_f64_e32 v[80:81], v[24:25], v[110:111]
	v_mul_f64_e32 v[86:87], v[169:170], v[86:87]
	;; [unrolled: 1-line block ×3, first 2 shown]
	v_fma_f64 v[114:115], v[153:154], v[68:69], -v[195:196]
	v_add_co_u32 v147, vcc_lo, v140, v147
	s_wait_alu 0xfffd
	v_add_co_ci_u32_e32 v148, vcc_lo, v141, v148, vcc_lo
	v_lshlrev_b64_e32 v[54:55], 4, v[212:213]
	v_mad_co_u64_u32 v[214:215], null, s16, v235, 0
	v_fma_f64 v[16:17], v[16:17], v[68:69], v[56:57]
	s_wait_dscnt 0x0
	v_mul_f64_e32 v[56:57], v[183:184], v[118:119]
	v_mul_f64_e32 v[68:69], v[138:139], v[106:107]
	v_fma_f64 v[70:71], v[171:172], v[76:77], -v[70:71]
	v_fma_f64 v[38:39], v[38:39], v[76:77], v[78:79]
	v_mul_f64_e32 v[76:77], v[177:178], v[110:111]
	s_wait_loadcnt 0x3
	v_mul_f64_e32 v[78:79], v[18:19], v[122:123]
	v_fma_f64 v[60:61], v[167:168], v[72:73], -v[60:61]
	v_fma_f64 v[34:35], v[34:35], v[72:73], v[62:63]
	s_wait_loadcnt 0x2
	v_mul_f64_e32 v[62:63], v[8:9], v[126:127]
	s_wait_loadcnt 0x1
	v_mul_f64_e32 v[72:73], v[20:21], v[134:135]
	;; [unrolled: 2-line block ×3, first 2 shown]
	v_mul_f64_e32 v[118:119], v[155:156], v[122:123]
	v_mul_f64_e32 v[134:135], v[181:182], v[134:135]
	;; [unrolled: 1-line block ×3, first 2 shown]
	v_fma_f64 v[30:31], v[30:31], v[88:89], v[52:53]
	v_mul_f64_e32 v[52:53], v[159:160], v[130:131]
	v_add_co_u32 v130, vcc_lo, v140, v74
	s_wait_alu 0xfffd
	v_add_co_ci_u32_e32 v131, vcc_lo, v141, v75, vcc_lo
	v_fma_f64 v[106:107], v[165:166], v[64:65], -v[198:199]
	v_add_co_u32 v165, vcc_lo, v140, v206
	s_wait_alu 0xfffd
	v_add_co_ci_u32_e32 v166, vcc_lo, v141, v207, vcc_lo
	v_add_co_u32 v167, vcc_lo, v140, v208
	s_wait_alu 0xfffd
	v_add_co_ci_u32_e32 v168, vcc_lo, v141, v209, vcc_lo
	v_fma_f64 v[122:123], v[169:170], v[84:85], -v[210:211]
	v_add_co_u32 v169, vcc_lo, v140, v54
	v_fma_f64 v[153:154], v[175:176], v[88:89], -v[216:217]
	s_wait_alu 0xfffd
	v_add_co_ci_u32_e32 v170, vcc_lo, v141, v55, vcc_lo
	v_fma_f64 v[54:55], v[179:180], v[100:101], -v[90:91]
	v_fma_f64 v[32:33], v[32:33], v[64:65], v[66:67]
	v_fma_f64 v[48:49], v[26:27], v[100:101], v[48:49]
	v_fma_f64 v[26:27], v[173:174], v[112:113], -v[50:51]
	v_fma_f64 v[50:51], v[138:139], v[104:105], -v[102:103]
	;; [unrolled: 1-line block ×4, first 2 shown]
	v_fma_f64 v[36:37], v[36:37], v[84:85], v[86:87]
	v_fma_f64 v[28:29], v[28:29], v[112:113], v[82:83]
	;; [unrolled: 1-line block ×4, first 2 shown]
	v_fma_f64 v[56:57], v[155:156], v[120:121], -v[78:79]
	v_fma_f64 v[62:63], v[136:137], v[124:125], -v[62:63]
	;; [unrolled: 1-line block ×4, first 2 shown]
	v_fma_f64 v[18:19], v[18:19], v[120:121], v[118:119]
	v_fma_f64 v[20:21], v[20:21], v[132:133], v[134:135]
	;; [unrolled: 1-line block ×4, first 2 shown]
	v_add_f64_e64 v[110:111], v[16:17], -v[46:47]
	v_add_f64_e64 v[112:113], v[42:43], -v[12:13]
	;; [unrolled: 1-line block ×8, first 2 shown]
	v_fma_f64 v[24:25], v[24:25], v[108:109], v[76:77]
	v_add_f64_e64 v[14:15], v[149:150], -v[114:115]
	v_add_f64_e64 v[74:75], v[157:158], -v[163:164]
	v_add_f64_e32 v[78:79], v[114:115], v[163:164]
	v_add_f64_e64 v[82:83], v[114:115], -v[149:150]
	v_add_f64_e32 v[86:87], v[149:150], v[157:158]
	v_add_f64_e32 v[88:89], v[114:115], v[98:99]
	v_add_f64_e64 v[102:103], v[114:115], -v[163:164]
	v_add_f64_e32 v[104:105], v[16:17], v[42:43]
	v_add_f64_e32 v[114:115], v[60:61], v[161:162]
	;; [unrolled: 1-line block ×6, first 2 shown]
	v_add_f64_e64 v[84:85], v[163:164], -v[157:158]
	v_add_f64_e64 v[195:196], v[153:154], -v[106:107]
	v_add_f64_e64 v[198:199], v[122:123], -v[54:55]
	v_add_f64_e64 v[225:226], v[50:51], -v[26:27]
	v_add_f64_e64 v[227:228], v[66:67], -v[64:65]
	v_mov_b32_e32 v151, v215
	v_lshlrev_b64_e32 v[171:172], 4, v[200:201]
	v_add_f64_e64 v[80:81], v[16:17], -v[42:43]
	v_add_f64_e64 v[90:91], v[46:47], -v[16:17]
	;; [unrolled: 1-line block ×3, first 2 shown]
	v_add_f64_e32 v[16:17], v[6:7], v[16:17]
	v_add_f64_e32 v[136:137], v[106:107], v[54:55]
	;; [unrolled: 1-line block ×5, first 2 shown]
	v_add_f64_e64 v[179:180], v[34:35], -v[44:45]
	v_add_f64_e64 v[181:182], v[40:41], -v[38:39]
	;; [unrolled: 1-line block ×4, first 2 shown]
	v_add_f64_e32 v[204:205], v[106:107], v[94:95]
	v_add_f64_e64 v[206:207], v[30:31], -v[32:33]
	v_add_f64_e64 v[208:209], v[36:37], -v[48:49]
	;; [unrolled: 1-line block ×6, first 2 shown]
	v_add_f64_e32 v[110:111], v[110:111], v[112:113]
	v_add_f64_e32 v[112:113], v[62:63], v[72:73]
	;; [unrolled: 1-line block ×11, first 2 shown]
	v_fma_f64 v[78:79], v[78:79], -0.5, v[98:99]
	v_fma_f64 v[86:87], v[86:87], -0.5, v[98:99]
	v_fma_f64 v[98:99], v[114:115], -0.5, v[96:97]
	v_fma_f64 v[96:97], v[116:117], -0.5, v[96:97]
	v_add_f64_e64 v[116:117], v[28:29], -v[10:11]
	v_fma_f64 v[104:105], v[104:105], -0.5, v[6:7]
	v_fma_f64 v[6:7], v[118:119], -0.5, v[6:7]
	;; [unrolled: 1-line block ×4, first 2 shown]
	v_add_f64_e64 v[126:127], v[22:23], -v[24:25]
	v_add_f64_e32 v[128:129], v[10:11], v[24:25]
	v_add_f64_e32 v[74:75], v[14:15], v[74:75]
	;; [unrolled: 1-line block ×10, first 2 shown]
	v_add_f64_e64 v[76:77], v[46:47], -v[12:13]
	v_add_f64_e64 v[108:109], v[149:150], -v[157:158]
	v_add_f64_e32 v[210:211], v[32:33], v[48:49]
	v_add_f64_e32 v[217:218], v[30:31], v[36:37]
	v_fma_f64 v[136:137], v[136:137], -0.5, v[94:95]
	v_fma_f64 v[94:95], v[138:139], -0.5, v[94:95]
	;; [unrolled: 1-line block ×4, first 2 shown]
	v_add_f64_e64 v[155:156], v[10:11], -v[28:29]
	v_add_f64_e64 v[159:160], v[24:25], -v[22:23]
	v_add_f64_e32 v[88:89], v[149:150], v[88:89]
	v_add_f64_e64 v[149:150], v[56:57], -v[62:63]
	v_add_f64_e32 v[90:91], v[90:91], v[100:101]
	;; [unrolled: 2-line block ×9, first 2 shown]
	v_fma_f64 v[112:113], v[112:113], -0.5, v[144:145]
	v_fma_f64 v[124:125], v[124:125], -0.5, v[144:145]
	v_add_f64_e64 v[144:145], v[18:19], -v[20:21]
	v_add_f64_e64 v[8:9], v[8:9], -v[52:53]
	;; [unrolled: 1-line block ×3, first 2 shown]
	v_fma_f64 v[134:135], v[134:135], -0.5, v[142:143]
	v_fma_f64 v[142:143], v[177:178], -0.5, v[142:143]
	v_add_f64_e64 v[177:178], v[56:57], -v[68:69]
	v_add_f64_e32 v[183:184], v[44:45], v[183:184]
	v_add_f64_e32 v[219:220], v[30:31], v[219:220]
	;; [unrolled: 1-line block ×3, first 2 shown]
	v_add_f64_e64 v[126:127], v[28:29], -v[22:23]
	v_add_f64_e64 v[10:11], v[10:11], -v[24:25]
	;; [unrolled: 1-line block ×3, first 2 shown]
	v_fma_f64 v[128:129], v[128:129], -0.5, v[0:1]
	v_fma_f64 v[0:1], v[14:15], -0.5, v[0:1]
	v_add_f64_e32 v[114:115], v[26:27], v[114:115]
	v_add_f64_e64 v[26:27], v[26:27], -v[64:65]
	v_add_f64_e64 v[32:33], v[32:33], -v[48:49]
	v_add_f64_e32 v[14:15], v[28:29], v[84:85]
	v_add_f64_e32 v[56:57], v[56:57], v[198:199]
	;; [unrolled: 1-line block ×3, first 2 shown]
	v_add_f64_e64 v[44:45], v[44:45], -v[38:39]
	v_add_f64_e64 v[30:31], v[30:31], -v[36:37]
	;; [unrolled: 1-line block ×4, first 2 shown]
	v_fma_f64 v[210:211], v[210:211], -0.5, v[2:3]
	v_fma_f64 v[2:3], v[217:218], -0.5, v[2:3]
	v_add_f64_e32 v[155:156], v[155:156], v[159:160]
	v_add_f64_e32 v[28:29], v[149:150], v[100:101]
	;; [unrolled: 1-line block ×3, first 2 shown]
	v_fma_f64 v[149:150], v[76:77], s[8:9], v[78:79]
	v_add_f64_e32 v[84:85], v[202:203], v[208:209]
	s_wait_alu 0xfffe
	v_fma_f64 v[78:79], v[76:77], s[10:11], v[78:79]
	v_fma_f64 v[159:160], v[80:81], s[10:11], v[86:87]
	;; [unrolled: 1-line block ×3, first 2 shown]
	v_add_f64_e32 v[100:101], v[215:216], v[223:224]
	v_add_f64_e32 v[88:89], v[157:158], v[88:89]
	v_fma_f64 v[157:158], v[108:109], s[10:11], v[104:105]
	v_fma_f64 v[104:105], v[108:109], s[8:9], v[104:105]
	;; [unrolled: 1-line block ×4, first 2 shown]
	v_add_f64_e32 v[122:123], v[122:123], v[204:205]
	v_fma_f64 v[204:205], v[144:145], s[8:9], v[112:113]
	v_fma_f64 v[112:113], v[144:145], s[10:11], v[112:113]
	;; [unrolled: 1-line block ×6, first 2 shown]
	v_add_f64_e64 v[60:61], v[60:61], -v[161:162]
	v_add_f64_e32 v[173:174], v[58:59], v[173:174]
	v_add_f64_e64 v[58:59], v[58:59], -v[70:71]
	v_add_f64_e32 v[12:13], v[16:17], v[12:13]
	v_fma_f64 v[134:135], v[177:178], s[10:11], v[134:135]
	v_fma_f64 v[142:143], v[62:63], s[8:9], v[142:143]
	v_add_f64_e64 v[34:35], v[34:35], -v[40:41]
	v_add_f64_e32 v[38:39], v[183:184], v[38:39]
	v_add_f64_e32 v[183:184], v[219:220], v[36:37]
	v_fma_f64 v[36:37], v[126:127], s[10:11], v[138:139]
	v_fma_f64 v[219:220], v[10:11], s[8:9], v[92:93]
	;; [unrolled: 1-line block ×4, first 2 shown]
	v_add_f64_e32 v[14:15], v[14:15], v[22:23]
	v_fma_f64 v[22:23], v[32:33], s[10:11], v[94:95]
	v_fma_f64 v[94:95], v[32:33], s[8:9], v[94:95]
	;; [unrolled: 1-line block ×6, first 2 shown]
	v_add_f64_e32 v[56:57], v[68:69], v[56:57]
	v_add_f64_e32 v[18:19], v[18:19], v[20:21]
	v_fma_f64 v[16:17], v[44:45], s[8:9], v[98:99]
	v_fma_f64 v[98:99], v[44:45], s[10:11], v[98:99]
	v_add_f64_e32 v[64:65], v[64:65], v[114:115]
	v_fma_f64 v[114:115], v[30:31], s[8:9], v[136:137]
	v_fma_f64 v[136:137], v[30:31], s[10:11], v[136:137]
	;; [unrolled: 1-line block ×8, first 2 shown]
	v_add_f64_e32 v[2:3], v[163:164], v[88:89]
	v_fma_f64 v[86:87], v[102:103], s[4:5], v[157:158]
	v_fma_f64 v[88:89], v[102:103], s[2:3], v[104:105]
	;; [unrolled: 1-line block ×9, first 2 shown]
	v_add_f64_e32 v[70:71], v[70:71], v[173:174]
	v_fma_f64 v[173:174], v[58:59], s[10:11], v[118:119]
	v_fma_f64 v[202:203], v[60:61], s[8:9], v[4:5]
	;; [unrolled: 1-line block ×4, first 2 shown]
	v_add_f64_e32 v[0:1], v[12:13], v[42:43]
	v_fma_f64 v[42:43], v[8:9], s[2:3], v[204:205]
	v_fma_f64 v[62:63], v[62:63], s[4:5], v[134:135]
	v_fma_f64 v[134:135], v[177:178], s[4:5], v[142:143]
	v_fma_f64 v[198:199], v[34:35], s[10:11], v[96:97]
	v_fma_f64 v[4:5], v[60:61], s[10:11], v[4:5]
	v_fma_f64 v[36:37], v[10:11], s[4:5], v[36:37]
	v_fma_f64 v[142:143], v[126:127], s[4:5], v[219:220]
	v_fma_f64 v[159:160], v[26:27], s[2:3], v[223:224]
	v_fma_f64 v[163:164], v[50:51], s[2:3], v[227:228]
	v_fma_f64 v[204:205], v[30:31], s[4:5], v[94:95]
	v_fma_f64 v[94:95], v[10:11], s[2:3], v[138:139]
	v_fma_f64 v[92:93], v[126:127], s[2:3], v[92:93]
	v_fma_f64 v[126:127], v[50:51], s[4:5], v[128:129]
	v_fma_f64 v[128:129], v[26:27], s[4:5], v[231:232]
	v_fma_f64 v[96:97], v[34:35], s[8:9], v[96:97]
	v_add_f64_e32 v[8:9], v[14:15], v[24:25]
	v_add_f64_e32 v[14:15], v[72:73], v[56:57]
	;; [unrolled: 1-line block ×3, first 2 shown]
	v_fma_f64 v[177:178], v[34:35], s[2:3], v[16:17]
	v_fma_f64 v[98:99], v[34:35], s[4:5], v[98:99]
	;; [unrolled: 1-line block ×4, first 2 shown]
	v_add_f64_e32 v[10:11], v[66:67], v[64:65]
	v_fma_f64 v[118:119], v[58:59], s[8:9], v[118:119]
	v_fma_f64 v[50:51], v[74:75], s[0:1], v[78:79]
	;; [unrolled: 1-line block ×9, first 2 shown]
	v_add_f64_e32 v[6:7], v[161:162], v[70:71]
	v_fma_f64 v[161:162], v[60:61], s[4:5], v[173:174]
	v_fma_f64 v[173:174], v[58:59], s[4:5], v[202:203]
	;; [unrolled: 1-line block ×12, first 2 shown]
	v_add_f64_e32 v[4:5], v[38:39], v[40:41]
	v_fma_f64 v[18:19], v[221:222], s[0:1], v[36:37]
	v_fma_f64 v[38:39], v[225:226], s[0:1], v[142:143]
	;; [unrolled: 1-line block ×7, first 2 shown]
	v_add_f64_e32 v[42:43], v[54:55], v[122:123]
	v_fma_f64 v[54:55], v[82:83], s[0:1], v[80:81]
	v_fma_f64 v[82:83], v[225:226], s[0:1], v[92:93]
	;; [unrolled: 1-line block ×3, first 2 shown]
	v_add_f64_e32 v[40:41], v[183:184], v[48:49]
	v_fma_f64 v[96:97], v[44:45], s[4:5], v[96:97]
	s_clause 0x7
	global_store_b128 v[185:186], v[12:15], off
	global_store_b128 v[187:188], v[32:35], off
	;; [unrolled: 1-line block ×8, first 2 shown]
	v_lshrrev_b32_e32 v12, 1, v234
	v_add_nc_u32_e32 v17, 0x249, v197
	v_mad_co_u64_u32 v[8:9], null, s16, v236, 0
	v_add_co_u32 v10, vcc_lo, v140, v171
	s_delay_alu instid0(VALU_DEP_4) | instskip(SKIP_3) | instid1(VALU_DEP_3)
	v_add_nc_u32_e32 v14, v12, v233
	v_mad_co_u64_u32 v[12:13], null, s17, v235, v[151:152]
	s_wait_alu 0xfffd
	v_add_co_ci_u32_e32 v11, vcc_lo, v141, v172, vcc_lo
	v_lshrrev_b32_e32 v18, 7, v14
	v_mad_co_u64_u32 v[13:14], null, s16, v17, 0
	v_mad_co_u64_u32 v[15:16], null, s17, v236, v[9:10]
	v_mov_b32_e32 v215, v12
	s_delay_alu instid0(VALU_DEP_4)
	v_mul_lo_u32 v16, 0xc3, v18
	s_clause 0x2
	global_store_b128 v[167:168], v[76:79], off
	global_store_b128 v[169:170], v[80:83], off
	;; [unrolled: 1-line block ×3, first 2 shown]
	v_fma_f64 v[46:47], v[74:75], s[0:1], v[149:150]
	v_mov_b32_e32 v10, v14
	v_lshlrev_b64_e32 v[11:12], 4, v[214:215]
	v_fma_f64 v[66:67], v[120:121], s[0:1], v[98:99]
	v_fma_f64 v[74:75], v[132:133], s[0:1], v[96:97]
	;; [unrolled: 1-line block ×8, first 2 shown]
	v_mov_b32_e32 v9, v15
	v_sub_nc_u32_e32 v14, v146, v16
	v_mad_co_u64_u32 v[15:16], null, s17, v17, v[10:11]
	v_fma_f64 v[86:87], v[195:196], s[0:1], v[114:115]
	v_fma_f64 v[84:85], v[206:207], s[0:1], v[208:209]
	v_add_nc_u32_e32 v21, 0x30c, v197
	v_add_co_u32 v10, vcc_lo, v140, v11
	s_wait_alu 0xfffd
	v_add_co_ci_u32_e32 v11, vcc_lo, v141, v12, vcc_lo
	v_mad_co_u64_u32 v[16:17], null, 0x3cf, v18, v[14:15]
	v_mad_co_u64_u32 v[17:18], null, s16, v21, 0
	v_mov_b32_e32 v14, v15
	v_lshlrev_b64_e32 v[8:9], 4, v[8:9]
	v_fma_f64 v[118:119], v[60:61], s[2:3], v[118:119]
	v_fma_f64 v[94:95], v[200:201], s[0:1], v[202:203]
	v_mad_co_u64_u32 v[19:20], null, s16, v16, 0
	v_lshlrev_b64_e32 v[13:14], 4, v[13:14]
	v_mov_b32_e32 v12, v18
	v_add_nc_u32_e32 v24, 0xc3, v16
	v_add_co_u32 v8, vcc_lo, v140, v8
	s_wait_alu 0xfffd
	v_add_co_ci_u32_e32 v9, vcc_lo, v141, v9, vcc_lo
	v_mov_b32_e32 v15, v20
	v_mad_co_u64_u32 v[20:21], null, s17, v21, v[12:13]
	v_add_co_u32 v12, vcc_lo, v140, v13
	s_delay_alu instid0(VALU_DEP_3) | instskip(SKIP_1) | instid1(VALU_DEP_4)
	v_mad_co_u64_u32 v[21:22], null, s17, v16, v[15:16]
	v_mad_co_u64_u32 v[22:23], null, s16, v24, 0
	v_mov_b32_e32 v18, v20
	s_clause 0x1
	global_store_b128 v[10:11], v[96:99], off
	global_store_b128 v[8:9], v[88:91], off
	s_wait_alu 0xfffd
	v_add_co_ci_u32_e32 v13, vcc_lo, v141, v14, vcc_lo
	v_fma_f64 v[92:93], v[212:213], s[0:1], v[210:211]
	v_lshlrev_b64_e32 v[9:10], 4, v[17:18]
	v_mov_b32_e32 v8, v23
	global_store_b128 v[12:13], v[84:87], off
	v_fma_f64 v[72:73], v[179:180], s[0:1], v[198:199]
	v_dual_mov_b32 v20, v21 :: v_dual_add_nc_u32 v21, 0x186, v16
	v_mad_co_u64_u32 v[11:12], null, s17, v24, v[8:9]
	v_add_nc_u32_e32 v24, 0x9c, v152
	s_delay_alu instid0(VALU_DEP_3)
	v_lshlrev_b64_e32 v[12:13], 4, v[19:20]
	v_add_co_u32 v8, vcc_lo, v140, v9
	s_wait_alu 0xfffd
	v_add_co_ci_u32_e32 v9, vcc_lo, v141, v10, vcc_lo
	v_mul_hi_u32 v25, 0x50150151, v24
	v_mov_b32_e32 v23, v11
	v_mad_co_u64_u32 v[10:11], null, s16, v21, 0
	v_add_nc_u32_e32 v26, 0x249, v16
	v_add_co_u32 v12, vcc_lo, v140, v12
	s_delay_alu instid0(VALU_DEP_4)
	v_lshlrev_b64_e32 v[17:18], 4, v[22:23]
	v_sub_nc_u32_e32 v19, v24, v25
	v_fma_f64 v[62:63], v[120:121], s[0:1], v[177:178]
	v_fma_f64 v[60:61], v[175:176], s[0:1], v[161:162]
	;; [unrolled: 1-line block ×3, first 2 shown]
	v_mad_co_u64_u32 v[14:15], null, s16, v26, 0
	v_lshrrev_b32_e32 v22, 1, v19
	v_mad_co_u64_u32 v[19:20], null, s17, v21, v[11:12]
	v_add_nc_u32_e32 v23, 0x30c, v16
	s_wait_alu 0xfffd
	v_add_co_ci_u32_e32 v13, vcc_lo, v141, v13, vcc_lo
	v_add_nc_u32_e32 v11, v22, v25
	v_mad_co_u64_u32 v[15:16], null, s17, v26, v[15:16]
	v_add_co_u32 v16, vcc_lo, v140, v17
	s_delay_alu instid0(VALU_DEP_3) | instskip(SKIP_3) | instid1(VALU_DEP_3)
	v_lshrrev_b32_e32 v22, 7, v11
	v_mad_co_u64_u32 v[20:21], null, s16, v23, 0
	s_wait_alu 0xfffd
	v_add_co_ci_u32_e32 v17, vcc_lo, v141, v18, vcc_lo
	v_mul_lo_u32 v18, 0xc3, v22
	v_mov_b32_e32 v11, v19
	v_fma_f64 v[70:71], v[132:133], s[0:1], v[181:182]
	v_fma_f64 v[68:69], v[179:180], s[0:1], v[173:174]
	s_clause 0x2
	global_store_b128 v[8:9], v[92:95], off
	global_store_b128 v[12:13], v[4:7], off
	;; [unrolled: 1-line block ×3, first 2 shown]
	v_lshlrev_b64_e32 v[5:6], 4, v[10:11]
	v_mov_b32_e32 v4, v21
	v_lshlrev_b64_e32 v[8:9], 4, v[14:15]
	v_sub_nc_u32_e32 v7, v24, v18
	s_delay_alu instid0(VALU_DEP_3) | instskip(NEXT) | instid1(VALU_DEP_2)
	v_mad_co_u64_u32 v[10:11], null, s17, v23, v[4:5]
	v_mad_co_u64_u32 v[11:12], null, 0x3cf, v22, v[7:8]
	v_add_co_u32 v4, vcc_lo, v140, v5
	s_wait_alu 0xfffd
	v_add_co_ci_u32_e32 v5, vcc_lo, v141, v6, vcc_lo
	v_add_co_u32 v6, vcc_lo, v140, v8
	s_wait_alu 0xfffd
	v_add_co_ci_u32_e32 v7, vcc_lo, v141, v9, vcc_lo
	v_add_nc_u32_e32 v14, 0xc3, v11
	v_add_nc_u32_e32 v17, 0x186, v11
	v_mov_b32_e32 v21, v10
	v_mad_co_u64_u32 v[8:9], null, s16, v11, 0
	s_clause 0x1
	global_store_b128 v[4:5], v[64:67], off
	global_store_b128 v[6:7], v[60:63], off
	v_mad_co_u64_u32 v[6:7], null, s16, v14, 0
	v_mad_co_u64_u32 v[12:13], null, s16, v17, 0
	v_lshlrev_b64_e32 v[4:5], 4, v[20:21]
	v_add_nc_u32_e32 v19, 0x249, v11
	v_add_nc_u32_e32 v20, 0x30c, v11
	v_mad_co_u64_u32 v[9:10], null, s17, v11, v[9:10]
	v_mad_co_u64_u32 v[14:15], null, s17, v14, v[7:8]
	s_delay_alu instid0(VALU_DEP_4) | instskip(SKIP_4) | instid1(VALU_DEP_2)
	v_mad_co_u64_u32 v[15:16], null, s16, v19, 0
	v_add_co_u32 v4, vcc_lo, v140, v4
	v_mov_b32_e32 v7, v13
	s_wait_alu 0xfffd
	v_add_co_ci_u32_e32 v5, vcc_lo, v141, v5, vcc_lo
	v_mad_co_u64_u32 v[10:11], null, s17, v17, v[7:8]
	v_mad_co_u64_u32 v[17:18], null, s16, v20, 0
	global_store_b128 v[4:5], v[68:71], off
	v_dual_mov_b32 v4, v16 :: v_dual_mov_b32 v7, v14
	v_lshlrev_b64_e32 v[8:9], 4, v[8:9]
	v_mov_b32_e32 v13, v10
	s_delay_alu instid0(VALU_DEP_3) | instskip(NEXT) | instid1(VALU_DEP_4)
	v_mad_co_u64_u32 v[4:5], null, s17, v19, v[4:5]
	v_lshlrev_b64_e32 v[6:7], 4, v[6:7]
	v_mov_b32_e32 v5, v18
	v_add_co_u32 v8, vcc_lo, v140, v8
	s_wait_alu 0xfffd
	v_add_co_ci_u32_e32 v9, vcc_lo, v141, v9, vcc_lo
	s_delay_alu instid0(VALU_DEP_3)
	v_mad_co_u64_u32 v[10:11], null, s17, v20, v[5:6]
	v_lshlrev_b64_e32 v[11:12], 4, v[12:13]
	v_mov_b32_e32 v16, v4
	v_add_co_u32 v4, vcc_lo, v140, v6
	s_wait_alu 0xfffd
	v_add_co_ci_u32_e32 v5, vcc_lo, v141, v7, vcc_lo
	v_mov_b32_e32 v18, v10
	v_lshlrev_b64_e32 v[6:7], 4, v[15:16]
	v_add_co_u32 v10, vcc_lo, v140, v11
	s_wait_alu 0xfffd
	v_add_co_ci_u32_e32 v11, vcc_lo, v141, v12, vcc_lo
	v_lshlrev_b64_e32 v[12:13], 4, v[17:18]
	s_delay_alu instid0(VALU_DEP_4) | instskip(SKIP_2) | instid1(VALU_DEP_3)
	v_add_co_u32 v6, vcc_lo, v140, v6
	s_wait_alu 0xfffd
	v_add_co_ci_u32_e32 v7, vcc_lo, v141, v7, vcc_lo
	v_add_co_u32 v12, vcc_lo, v140, v12
	s_wait_alu 0xfffd
	v_add_co_ci_u32_e32 v13, vcc_lo, v141, v13, vcc_lo
	s_clause 0x4
	global_store_b128 v[8:9], v[0:3], off
	global_store_b128 v[4:5], v[56:59], off
	;; [unrolled: 1-line block ×5, first 2 shown]
.LBB0_28:
	s_nop 0
	s_sendmsg sendmsg(MSG_DEALLOC_VGPRS)
	s_endpgm
	.section	.rodata,"a",@progbits
	.p2align	6, 0x0
	.amdhsa_kernel fft_rtc_back_len975_factors_13_5_3_5_wgs_117_tpt_39_halfLds_dp_op_CI_CI_sbrr_dirReg
		.amdhsa_group_segment_fixed_size 0
		.amdhsa_private_segment_fixed_size 0
		.amdhsa_kernarg_size 104
		.amdhsa_user_sgpr_count 2
		.amdhsa_user_sgpr_dispatch_ptr 0
		.amdhsa_user_sgpr_queue_ptr 0
		.amdhsa_user_sgpr_kernarg_segment_ptr 1
		.amdhsa_user_sgpr_dispatch_id 0
		.amdhsa_user_sgpr_private_segment_size 0
		.amdhsa_wavefront_size32 1
		.amdhsa_uses_dynamic_stack 0
		.amdhsa_enable_private_segment 0
		.amdhsa_system_sgpr_workgroup_id_x 1
		.amdhsa_system_sgpr_workgroup_id_y 0
		.amdhsa_system_sgpr_workgroup_id_z 0
		.amdhsa_system_sgpr_workgroup_info 0
		.amdhsa_system_vgpr_workitem_id 0
		.amdhsa_next_free_vgpr 244
		.amdhsa_next_free_sgpr 48
		.amdhsa_reserve_vcc 1
		.amdhsa_float_round_mode_32 0
		.amdhsa_float_round_mode_16_64 0
		.amdhsa_float_denorm_mode_32 3
		.amdhsa_float_denorm_mode_16_64 3
		.amdhsa_fp16_overflow 0
		.amdhsa_workgroup_processor_mode 1
		.amdhsa_memory_ordered 1
		.amdhsa_forward_progress 0
		.amdhsa_round_robin_scheduling 0
		.amdhsa_exception_fp_ieee_invalid_op 0
		.amdhsa_exception_fp_denorm_src 0
		.amdhsa_exception_fp_ieee_div_zero 0
		.amdhsa_exception_fp_ieee_overflow 0
		.amdhsa_exception_fp_ieee_underflow 0
		.amdhsa_exception_fp_ieee_inexact 0
		.amdhsa_exception_int_div_zero 0
	.end_amdhsa_kernel
	.text
.Lfunc_end0:
	.size	fft_rtc_back_len975_factors_13_5_3_5_wgs_117_tpt_39_halfLds_dp_op_CI_CI_sbrr_dirReg, .Lfunc_end0-fft_rtc_back_len975_factors_13_5_3_5_wgs_117_tpt_39_halfLds_dp_op_CI_CI_sbrr_dirReg
                                        ; -- End function
	.section	.AMDGPU.csdata,"",@progbits
; Kernel info:
; codeLenInByte = 21192
; NumSgprs: 50
; NumVgprs: 244
; ScratchSize: 0
; MemoryBound: 1
; FloatMode: 240
; IeeeMode: 1
; LDSByteSize: 0 bytes/workgroup (compile time only)
; SGPRBlocks: 6
; VGPRBlocks: 30
; NumSGPRsForWavesPerEU: 50
; NumVGPRsForWavesPerEU: 244
; Occupancy: 5
; WaveLimiterHint : 1
; COMPUTE_PGM_RSRC2:SCRATCH_EN: 0
; COMPUTE_PGM_RSRC2:USER_SGPR: 2
; COMPUTE_PGM_RSRC2:TRAP_HANDLER: 0
; COMPUTE_PGM_RSRC2:TGID_X_EN: 1
; COMPUTE_PGM_RSRC2:TGID_Y_EN: 0
; COMPUTE_PGM_RSRC2:TGID_Z_EN: 0
; COMPUTE_PGM_RSRC2:TIDIG_COMP_CNT: 0
	.text
	.p2alignl 7, 3214868480
	.fill 96, 4, 3214868480
	.type	__hip_cuid_e4d7b8907a92152,@object ; @__hip_cuid_e4d7b8907a92152
	.section	.bss,"aw",@nobits
	.globl	__hip_cuid_e4d7b8907a92152
__hip_cuid_e4d7b8907a92152:
	.byte	0                               ; 0x0
	.size	__hip_cuid_e4d7b8907a92152, 1

	.ident	"AMD clang version 19.0.0git (https://github.com/RadeonOpenCompute/llvm-project roc-6.4.0 25133 c7fe45cf4b819c5991fe208aaa96edf142730f1d)"
	.section	".note.GNU-stack","",@progbits
	.addrsig
	.addrsig_sym __hip_cuid_e4d7b8907a92152
	.amdgpu_metadata
---
amdhsa.kernels:
  - .args:
      - .actual_access:  read_only
        .address_space:  global
        .offset:         0
        .size:           8
        .value_kind:     global_buffer
      - .offset:         8
        .size:           8
        .value_kind:     by_value
      - .actual_access:  read_only
        .address_space:  global
        .offset:         16
        .size:           8
        .value_kind:     global_buffer
      - .actual_access:  read_only
        .address_space:  global
        .offset:         24
        .size:           8
        .value_kind:     global_buffer
      - .actual_access:  read_only
        .address_space:  global
        .offset:         32
        .size:           8
        .value_kind:     global_buffer
      - .offset:         40
        .size:           8
        .value_kind:     by_value
      - .actual_access:  read_only
        .address_space:  global
        .offset:         48
        .size:           8
        .value_kind:     global_buffer
      - .actual_access:  read_only
        .address_space:  global
        .offset:         56
        .size:           8
        .value_kind:     global_buffer
      - .offset:         64
        .size:           4
        .value_kind:     by_value
      - .actual_access:  read_only
        .address_space:  global
        .offset:         72
        .size:           8
        .value_kind:     global_buffer
      - .actual_access:  read_only
        .address_space:  global
        .offset:         80
        .size:           8
        .value_kind:     global_buffer
      - .actual_access:  read_only
        .address_space:  global
        .offset:         88
        .size:           8
        .value_kind:     global_buffer
      - .actual_access:  write_only
        .address_space:  global
        .offset:         96
        .size:           8
        .value_kind:     global_buffer
    .group_segment_fixed_size: 0
    .kernarg_segment_align: 8
    .kernarg_segment_size: 104
    .language:       OpenCL C
    .language_version:
      - 2
      - 0
    .max_flat_workgroup_size: 117
    .name:           fft_rtc_back_len975_factors_13_5_3_5_wgs_117_tpt_39_halfLds_dp_op_CI_CI_sbrr_dirReg
    .private_segment_fixed_size: 0
    .sgpr_count:     50
    .sgpr_spill_count: 0
    .symbol:         fft_rtc_back_len975_factors_13_5_3_5_wgs_117_tpt_39_halfLds_dp_op_CI_CI_sbrr_dirReg.kd
    .uniform_work_group_size: 1
    .uses_dynamic_stack: false
    .vgpr_count:     244
    .vgpr_spill_count: 0
    .wavefront_size: 32
    .workgroup_processor_mode: 1
amdhsa.target:   amdgcn-amd-amdhsa--gfx1201
amdhsa.version:
  - 1
  - 2
...

	.end_amdgpu_metadata
